;; amdgpu-corpus repo=ROCm/rocFFT kind=compiled arch=gfx950 opt=O3
	.text
	.amdgcn_target "amdgcn-amd-amdhsa--gfx950"
	.amdhsa_code_object_version 6
	.protected	fft_rtc_fwd_len1700_factors_17_10_10_wgs_170_tpt_170_halfLds_sp_ip_CI_unitstride_sbrr_dirReg ; -- Begin function fft_rtc_fwd_len1700_factors_17_10_10_wgs_170_tpt_170_halfLds_sp_ip_CI_unitstride_sbrr_dirReg
	.globl	fft_rtc_fwd_len1700_factors_17_10_10_wgs_170_tpt_170_halfLds_sp_ip_CI_unitstride_sbrr_dirReg
	.p2align	8
	.type	fft_rtc_fwd_len1700_factors_17_10_10_wgs_170_tpt_170_halfLds_sp_ip_CI_unitstride_sbrr_dirReg,@function
fft_rtc_fwd_len1700_factors_17_10_10_wgs_170_tpt_170_halfLds_sp_ip_CI_unitstride_sbrr_dirReg: ; @fft_rtc_fwd_len1700_factors_17_10_10_wgs_170_tpt_170_halfLds_sp_ip_CI_unitstride_sbrr_dirReg
; %bb.0:
	s_load_dwordx2 s[8:9], s[0:1], 0x50
	s_load_dwordx4 s[4:7], s[0:1], 0x0
	s_load_dwordx2 s[10:11], s[0:1], 0x18
	v_mul_u32_u24_e32 v1, 0x182, v0
	v_add_u32_sdwa v6, s2, v1 dst_sel:DWORD dst_unused:UNUSED_PAD src0_sel:DWORD src1_sel:WORD_1
	v_mov_b32_e32 v4, 0
	s_waitcnt lgkmcnt(0)
	v_cmp_lt_u64_e64 s[2:3], s[6:7], 2
	v_mov_b32_e32 v7, v4
	s_and_b64 vcc, exec, s[2:3]
	v_mov_b64_e32 v[2:3], 0
	s_cbranch_vccnz .LBB0_8
; %bb.1:
	s_load_dwordx2 s[2:3], s[0:1], 0x10
	s_add_u32 s12, s10, 8
	s_addc_u32 s13, s11, 0
	s_mov_b64 s[14:15], 1
	v_mov_b64_e32 v[2:3], 0
	s_waitcnt lgkmcnt(0)
	s_add_u32 s16, s2, 8
	s_addc_u32 s17, s3, 0
.LBB0_2:                                ; =>This Inner Loop Header: Depth=1
	s_load_dwordx2 s[18:19], s[16:17], 0x0
                                        ; implicit-def: $vgpr8_vgpr9
	s_waitcnt lgkmcnt(0)
	v_or_b32_e32 v5, s19, v7
	v_cmp_ne_u64_e32 vcc, 0, v[4:5]
	s_and_saveexec_b64 s[2:3], vcc
	s_xor_b64 s[20:21], exec, s[2:3]
	s_cbranch_execz .LBB0_4
; %bb.3:                                ;   in Loop: Header=BB0_2 Depth=1
	v_cvt_f32_u32_e32 v1, s18
	v_cvt_f32_u32_e32 v5, s19
	s_sub_u32 s2, 0, s18
	s_subb_u32 s3, 0, s19
	v_fmac_f32_e32 v1, 0x4f800000, v5
	v_rcp_f32_e32 v1, v1
	s_nop 0
	v_mul_f32_e32 v1, 0x5f7ffffc, v1
	v_mul_f32_e32 v5, 0x2f800000, v1
	v_trunc_f32_e32 v5, v5
	v_fmac_f32_e32 v1, 0xcf800000, v5
	v_cvt_u32_f32_e32 v5, v5
	v_cvt_u32_f32_e32 v1, v1
	v_mul_lo_u32 v8, s2, v5
	v_mul_hi_u32 v10, s2, v1
	v_mul_lo_u32 v9, s3, v1
	v_add_u32_e32 v10, v10, v8
	v_mul_lo_u32 v12, s2, v1
	v_add_u32_e32 v13, v10, v9
	v_mul_hi_u32 v8, v1, v12
	v_mul_hi_u32 v11, v1, v13
	v_mul_lo_u32 v10, v1, v13
	v_mov_b32_e32 v9, v4
	v_lshl_add_u64 v[8:9], v[8:9], 0, v[10:11]
	v_mul_hi_u32 v11, v5, v12
	v_mul_lo_u32 v12, v5, v12
	v_add_co_u32_e32 v8, vcc, v8, v12
	v_mul_hi_u32 v10, v5, v13
	s_nop 0
	v_addc_co_u32_e32 v8, vcc, v9, v11, vcc
	v_mov_b32_e32 v9, v4
	s_nop 0
	v_addc_co_u32_e32 v11, vcc, 0, v10, vcc
	v_mul_lo_u32 v10, v5, v13
	v_lshl_add_u64 v[8:9], v[8:9], 0, v[10:11]
	v_add_co_u32_e32 v1, vcc, v1, v8
	v_mul_lo_u32 v10, s2, v1
	s_nop 0
	v_addc_co_u32_e32 v5, vcc, v5, v9, vcc
	v_mul_lo_u32 v8, s2, v5
	v_mul_hi_u32 v9, s2, v1
	v_add_u32_e32 v8, v9, v8
	v_mul_lo_u32 v9, s3, v1
	v_add_u32_e32 v12, v8, v9
	v_mul_hi_u32 v14, v5, v10
	v_mul_lo_u32 v15, v5, v10
	v_mul_hi_u32 v9, v1, v12
	v_mul_lo_u32 v8, v1, v12
	v_mul_hi_u32 v10, v1, v10
	v_mov_b32_e32 v11, v4
	v_lshl_add_u64 v[8:9], v[10:11], 0, v[8:9]
	v_add_co_u32_e32 v8, vcc, v8, v15
	v_mul_hi_u32 v13, v5, v12
	s_nop 0
	v_addc_co_u32_e32 v8, vcc, v9, v14, vcc
	v_mul_lo_u32 v10, v5, v12
	s_nop 0
	v_addc_co_u32_e32 v11, vcc, 0, v13, vcc
	v_mov_b32_e32 v9, v4
	v_lshl_add_u64 v[8:9], v[8:9], 0, v[10:11]
	v_add_co_u32_e32 v1, vcc, v1, v8
	v_mul_hi_u32 v10, v6, v1
	s_nop 0
	v_addc_co_u32_e32 v5, vcc, v5, v9, vcc
	v_mad_u64_u32 v[8:9], s[2:3], v6, v5, 0
	v_mov_b32_e32 v11, v4
	v_lshl_add_u64 v[8:9], v[10:11], 0, v[8:9]
	v_mad_u64_u32 v[12:13], s[2:3], v7, v1, 0
	v_add_co_u32_e32 v1, vcc, v8, v12
	v_mad_u64_u32 v[10:11], s[2:3], v7, v5, 0
	s_nop 0
	v_addc_co_u32_e32 v8, vcc, v9, v13, vcc
	v_mov_b32_e32 v9, v4
	s_nop 0
	v_addc_co_u32_e32 v11, vcc, 0, v11, vcc
	v_lshl_add_u64 v[8:9], v[8:9], 0, v[10:11]
	v_mul_lo_u32 v1, s19, v8
	v_mul_lo_u32 v5, s18, v9
	v_mad_u64_u32 v[10:11], s[2:3], s18, v8, 0
	v_add3_u32 v1, v11, v5, v1
	v_sub_u32_e32 v5, v7, v1
	v_mov_b32_e32 v11, s19
	v_sub_co_u32_e32 v14, vcc, v6, v10
	v_lshl_add_u64 v[12:13], v[8:9], 0, 1
	s_nop 0
	v_subb_co_u32_e64 v5, s[2:3], v5, v11, vcc
	v_subrev_co_u32_e64 v10, s[2:3], s18, v14
	v_subb_co_u32_e32 v1, vcc, v7, v1, vcc
	s_nop 0
	v_subbrev_co_u32_e64 v5, s[2:3], 0, v5, s[2:3]
	v_cmp_le_u32_e64 s[2:3], s19, v5
	v_cmp_le_u32_e32 vcc, s19, v1
	s_nop 0
	v_cndmask_b32_e64 v11, 0, -1, s[2:3]
	v_cmp_le_u32_e64 s[2:3], s18, v10
	s_nop 1
	v_cndmask_b32_e64 v10, 0, -1, s[2:3]
	v_cmp_eq_u32_e64 s[2:3], s19, v5
	s_nop 1
	v_cndmask_b32_e64 v5, v11, v10, s[2:3]
	v_lshl_add_u64 v[10:11], v[8:9], 0, 2
	v_cmp_ne_u32_e64 s[2:3], 0, v5
	s_nop 1
	v_cndmask_b32_e64 v5, v13, v11, s[2:3]
	v_cndmask_b32_e64 v11, 0, -1, vcc
	v_cmp_le_u32_e32 vcc, s18, v14
	s_nop 1
	v_cndmask_b32_e64 v13, 0, -1, vcc
	v_cmp_eq_u32_e32 vcc, s19, v1
	s_nop 1
	v_cndmask_b32_e32 v1, v11, v13, vcc
	v_cmp_ne_u32_e32 vcc, 0, v1
	v_cndmask_b32_e64 v1, v12, v10, s[2:3]
	s_nop 0
	v_cndmask_b32_e32 v9, v9, v5, vcc
	v_cndmask_b32_e32 v8, v8, v1, vcc
.LBB0_4:                                ;   in Loop: Header=BB0_2 Depth=1
	s_andn2_saveexec_b64 s[2:3], s[20:21]
	s_cbranch_execz .LBB0_6
; %bb.5:                                ;   in Loop: Header=BB0_2 Depth=1
	v_cvt_f32_u32_e32 v1, s18
	s_sub_i32 s20, 0, s18
	v_rcp_iflag_f32_e32 v1, v1
	s_nop 0
	v_mul_f32_e32 v1, 0x4f7ffffe, v1
	v_cvt_u32_f32_e32 v1, v1
	v_mul_lo_u32 v5, s20, v1
	v_mul_hi_u32 v5, v1, v5
	v_add_u32_e32 v1, v1, v5
	v_mul_hi_u32 v1, v6, v1
	v_mul_lo_u32 v5, v1, s18
	v_sub_u32_e32 v5, v6, v5
	v_add_u32_e32 v8, 1, v1
	v_subrev_u32_e32 v9, s18, v5
	v_cmp_le_u32_e32 vcc, s18, v5
	s_nop 1
	v_cndmask_b32_e32 v5, v5, v9, vcc
	v_cndmask_b32_e32 v1, v1, v8, vcc
	v_add_u32_e32 v8, 1, v1
	v_cmp_le_u32_e32 vcc, s18, v5
	v_mov_b32_e32 v9, v4
	s_nop 0
	v_cndmask_b32_e32 v8, v1, v8, vcc
.LBB0_6:                                ;   in Loop: Header=BB0_2 Depth=1
	s_or_b64 exec, exec, s[2:3]
	v_mad_u64_u32 v[10:11], s[2:3], v8, s18, 0
	s_load_dwordx2 s[2:3], s[12:13], 0x0
	v_mul_lo_u32 v1, v9, s18
	v_mul_lo_u32 v5, v8, s19
	v_add3_u32 v1, v11, v5, v1
	v_sub_co_u32_e32 v5, vcc, v6, v10
	s_add_u32 s14, s14, 1
	s_nop 0
	v_subb_co_u32_e32 v1, vcc, v7, v1, vcc
	s_addc_u32 s15, s15, 0
	s_waitcnt lgkmcnt(0)
	v_mul_lo_u32 v1, s2, v1
	v_mul_lo_u32 v6, s3, v5
	v_mad_u64_u32 v[2:3], s[2:3], s2, v5, v[2:3]
	s_add_u32 s12, s12, 8
	v_add3_u32 v3, v6, v3, v1
	s_addc_u32 s13, s13, 0
	v_mov_b64_e32 v[6:7], s[6:7]
	s_add_u32 s16, s16, 8
	v_cmp_ge_u64_e32 vcc, s[14:15], v[6:7]
	s_addc_u32 s17, s17, 0
	s_cbranch_vccnz .LBB0_9
; %bb.7:                                ;   in Loop: Header=BB0_2 Depth=1
	v_mov_b64_e32 v[6:7], v[8:9]
	s_branch .LBB0_2
.LBB0_8:
	v_mov_b64_e32 v[8:9], v[6:7]
.LBB0_9:
	s_lshl_b64 s[2:3], s[6:7], 3
	s_add_u32 s2, s10, s2
	s_addc_u32 s3, s11, s3
	s_load_dwordx2 s[6:7], s[2:3], 0x0
	s_load_dwordx2 s[10:11], s[0:1], 0x20
	s_mov_b32 s2, 0x1818182
	v_mov_b32_e32 v7, 0
	v_mov_b32_e32 v6, 0
	s_waitcnt lgkmcnt(0)
	v_mul_lo_u32 v1, s6, v9
	v_mul_lo_u32 v4, s7, v8
	v_mad_u64_u32 v[2:3], s[0:1], s6, v8, v[2:3]
	v_add3_u32 v3, v4, v3, v1
	v_mul_hi_u32 v1, v0, s2
	v_mul_u32_u24_e32 v1, 0xaa, v1
	v_cmp_gt_u64_e64 s[0:1], s[10:11], v[8:9]
	v_sub_u32_e32 v0, v0, v1
	v_mov_b32_e32 v4, 0
                                        ; implicit-def: $vgpr61
                                        ; implicit-def: $vgpr18
                                        ; implicit-def: $vgpr26
                                        ; implicit-def: $vgpr12
                                        ; implicit-def: $vgpr28
                                        ; implicit-def: $vgpr14
                                        ; implicit-def: $vgpr62
                                        ; implicit-def: $vgpr24
                                        ; implicit-def: $vgpr64
                                        ; implicit-def: $vgpr22
                                        ; implicit-def: $vgpr66
                                        ; implicit-def: $vgpr20
                                        ; implicit-def: $vgpr68
                                        ; implicit-def: $vgpr16
                                        ; implicit-def: $vgpr10
                                        ; implicit-def: $vgpr8
	s_and_saveexec_b64 s[2:3], s[0:1]
	s_cbranch_execz .LBB0_13
; %bb.10:
	s_movk_i32 s6, 0x64
	v_cmp_gt_u32_e32 vcc, s6, v0
	v_mov_b32_e32 v6, 0
	v_mov_b32_e32 v7, 0
                                        ; implicit-def: $vgpr9
                                        ; implicit-def: $vgpr11
                                        ; implicit-def: $vgpr17
                                        ; implicit-def: $vgpr69
                                        ; implicit-def: $vgpr21
                                        ; implicit-def: $vgpr67
                                        ; implicit-def: $vgpr23
                                        ; implicit-def: $vgpr65
                                        ; implicit-def: $vgpr25
                                        ; implicit-def: $vgpr63
                                        ; implicit-def: $vgpr15
                                        ; implicit-def: $vgpr29
                                        ; implicit-def: $vgpr13
                                        ; implicit-def: $vgpr27
                                        ; implicit-def: $vgpr19
                                        ; implicit-def: $vgpr60
	s_and_saveexec_b64 s[6:7], vcc
	s_cbranch_execz .LBB0_12
; %bb.11:
	v_mov_b32_e32 v1, 0
	v_lshl_add_u64 v[4:5], v[2:3], 3, s[8:9]
	v_lshl_add_u64 v[4:5], v[0:1], 3, v[4:5]
	v_add_co_u32_e32 v8, vcc, 0x1000, v4
	global_load_dwordx2 v[6:7], v[4:5], off
	global_load_dwordx2 v[10:11], v[4:5], off offset:800
	v_addc_co_u32_e32 v9, vcc, 0, v5, vcc
	v_add_co_u32_e32 v30, vcc, 0x2000, v4
	s_nop 1
	v_addc_co_u32_e32 v31, vcc, 0, v5, vcc
	global_load_dwordx2 v[18:19], v[8:9], off offset:2304
	global_load_dwordx2 v[60:61], v[8:9], off offset:3104
	;; [unrolled: 1-line block ×14, first 2 shown]
	v_add_co_u32_e32 v4, vcc, 0x3000, v4
	s_nop 1
	v_addc_co_u32_e32 v5, vcc, 0, v5, vcc
	global_load_dwordx2 v[8:9], v[4:5], off offset:512
.LBB0_12:
	s_or_b64 exec, exec, s[6:7]
	v_mov_b32_e32 v4, v0
.LBB0_13:
	s_or_b64 exec, exec, s[2:3]
	s_movk_i32 s2, 0x64
	s_waitcnt vmcnt(0)
	v_pk_add_f32 v[58:59], v[10:11], v[8:9] neg_lo:[0,1] neg_hi:[0,1]
	v_pk_add_f32 v[32:33], v[68:69], v[16:17]
	v_pk_add_f32 v[56:57], v[68:69], v[16:17] neg_lo:[0,1] neg_hi:[0,1]
	v_pk_add_f32 v[34:35], v[66:67], v[20:21]
	;; [unrolled: 2-line block ×6, first 2 shown]
	v_pk_add_f32 v[46:47], v[26:27], v[12:13] neg_lo:[0,1] neg_hi:[0,1]
	v_cmp_gt_u32_e32 vcc, s2, v0
	v_pk_add_f32 v[38:39], v[18:19], v[60:61]
	v_pk_add_f32 v[40:41], v[18:19], v[60:61] neg_lo:[0,1] neg_hi:[0,1]
	s_and_saveexec_b64 s[2:3], vcc
	s_cbranch_execz .LBB0_15
; %bb.14:
	v_mov_b32_e32 v72, v34
	v_mov_b32_e32 v73, v55
	s_mov_b32 s10, 0x3ee437d1
	s_mov_b32 s11, 0xbf65296c
	v_pk_mul_f32 v[70:71], v[72:73], s[10:11]
	v_mov_b32_e32 v74, v36
	v_mov_b32_e32 v1, v70
	;; [unrolled: 1-line block ×3, first 2 shown]
	s_mov_b32 s15, 0xbf7ee86f
	s_mov_b32 s14, 0x3dbcf732
	v_pk_fma_f32 v[82:83], v[72:73], s[10:11], v[0:1] neg_lo:[1,0,0] neg_hi:[1,0,0]
	v_pk_mul_f32 v[72:73], v[74:75], s[14:15]
	v_mov_b32_e32 v76, v42
	v_mov_b32_e32 v1, v72
	;; [unrolled: 1-line block ×3, first 2 shown]
	s_mov_b32 s6, 0xbe8c1d8e
	s_mov_b32 s7, 0xbf763a35
	v_pk_fma_f32 v[84:85], v[74:75], s[14:15], v[0:1] neg_lo:[1,0,0] neg_hi:[1,0,0]
	v_pk_mul_f32 v[74:75], v[76:77], s[6:7]
	s_mov_b32 s18, 0xbf1a4643
	v_mov_b32_e32 v1, v74
	s_mov_b32 s19, 0xbf4c4adb
	v_mov_b32_e32 v78, v44
	v_mov_b32_e32 v79, v49
	v_pk_fma_f32 v[86:87], v[76:77], s[6:7], v[0:1] neg_lo:[1,0,0] neg_hi:[1,0,0]
	v_pk_mul_f32 v[76:77], v[78:79], s[18:19]
	v_mov_b32_e32 v90, v28
	v_mov_b32_e32 v1, v76
	v_pk_fma_f32 v[88:89], v[78:79], s[18:19], v[0:1] neg_lo:[1,0,0] neg_hi:[1,0,0]
	v_mov_b32_e32 v79, v6
	v_mov_b32_e32 v78, v6
	v_pk_add_f32 v[80:81], v[78:79], v[10:11]
	v_mov_b32_e32 v91, v8
	v_pk_add_f32 v[80:81], v[80:81], v[68:69]
	s_mov_b32 s16, 0xbf59a7d5
	v_pk_add_f32 v[80:81], v[80:81], v[66:67]
	s_mov_b32 s17, 0xbf06c442
	;; [unrolled: 2-line block ×4, first 2 shown]
	v_mov_b32_e32 v81, v10
	v_pk_add_f32 v[80:81], v[80:81], v[90:91]
	s_mov_b32 s27, s19
	s_mov_b32 s30, s19
	;; [unrolled: 1-line block ×8, first 2 shown]
	v_pk_mul_f32 v[90:91], v[80:81], s[18:19] op_sel:[1,0]
	v_mov_b32_e32 v78, v60
	s_mov_b32 s28, s25
	s_mov_b32 s29, s12
	v_pk_fma_f32 v[92:93], v[58:59], s[30:31], v[90:91] op_sel:[1,0,0]
	v_pk_mul_f32 v[94:95], v[32:33], s[34:35] op_sel_hi:[0,1]
	s_mov_b32 s61, 0x3f6eb680
	v_pk_add_f32 v[92:93], v[78:79], v[92:93] op_sel:[1,0]
	v_pk_fma_f32 v[96:97], v[56:57], s[28:29], v[94:95] op_sel:[1,0,0]
	s_mov_b32 s19, 0xbeb8f4ab
	s_mov_b32 s36, s61
	;; [unrolled: 1-line block ×3, first 2 shown]
	v_pk_add_f32 v[92:93], v[92:93], v[96:97]
	s_mov_b32 s34, s19
	s_mov_b32 s35, s15
	v_pk_mul_f32 v[96:97], v[34:35], s[36:37] op_sel_hi:[0,1]
	v_pk_fma_f32 v[98:99], v[54:55], s[34:35], v[96:97] op_sel:[1,0,0]
	s_mov_b32 s38, 0x3f4c4adb
	s_mov_b32 s40, s16
	;; [unrolled: 1-line block ×3, first 2 shown]
	v_pk_add_f32 v[92:93], v[92:93], v[98:99]
	s_mov_b32 s36, s17
	s_mov_b32 s37, s38
	v_pk_mul_f32 v[98:99], v[36:37], s[40:41] op_sel_hi:[0,1]
	v_pk_fma_f32 v[100:101], v[52:53], s[36:37], v[98:99] op_sel:[1,0,0]
	s_mov_b32 s45, 0x3f7ee86f
	s_mov_b32 s20, s15
	;; [unrolled: 1-line block ×5, first 2 shown]
	v_pk_add_f32 v[92:93], v[92:93], v[100:101]
	s_mov_b32 s40, s45
	s_mov_b32 s41, s19
	v_pk_mul_f32 v[100:101], v[42:43], s[14:15] op_sel_hi:[0,1]
	s_mov_b32 s62, 0xbf7ba420
	s_mov_b32 s66, 0x3f3d2fb0
	v_pk_fma_f32 v[102:103], v[50:51], s[40:41], v[100:101] op_sel:[1,0,0]
	s_mov_b32 s63, 0xbe3c28d5
	s_mov_b32 s67, 0xbf2c7751
	;; [unrolled: 1-line block ×4, first 2 shown]
	v_pk_add_f32 v[92:93], v[92:93], v[102:103]
	s_mov_b32 s42, s67
	s_mov_b32 s43, s63
	v_pk_mul_f32 v[102:103], v[44:45], s[46:47] op_sel_hi:[0,1]
	s_mov_b32 s54, 0x3f06c442
	v_pk_fma_f32 v[104:105], v[48:49], s[42:43], v[102:103] op_sel:[1,0,0]
	s_mov_b32 s55, 0x3f2c7751
	s_mov_b32 s50, s62
	;; [unrolled: 1-line block ×3, first 2 shown]
	v_pk_add_f32 v[92:93], v[92:93], v[104:105]
	s_mov_b32 s46, s63
	s_mov_b32 s47, s55
	v_pk_mul_f32 v[104:105], v[30:31], s[50:51] op_sel_hi:[0,1]
	v_pk_fma_f32 v[106:107], v[46:47], s[46:47], v[104:105] op_sel:[1,0,0]
	s_mov_b32 s57, s11
	s_mov_b32 s53, s11
	;; [unrolled: 1-line block ×4, first 2 shown]
	v_pk_add_f32 v[92:93], v[92:93], v[106:107]
	s_mov_b32 s71, s6
	s_mov_b32 s60, s6
	;; [unrolled: 1-line block ×5, first 2 shown]
	v_pk_mul_f32 v[106:107], v[38:39], s[10:11] op_sel_hi:[0,1]
	v_pk_fma_f32 v[108:109], v[40:41], s[6:7], v[106:107] op_sel:[1,0,0]
	s_movk_i32 s11, 0x44
	v_pk_add_f32 v[92:93], v[92:93], v[108:109]
	v_mad_u32_u24 v5, v0, s11, 0
	s_mov_b32 s64, s14
	ds_write2_b32 v5, v93, v92 offset0:10 offset1:11
	s_mov_b32 s72, s62
	s_mov_b32 s73, s16
	;; [unrolled: 1-line block ×3, first 2 shown]
	v_pk_mul_f32 v[92:93], v[80:81], s[64:65] op_sel:[1,0]
	s_mov_b32 s58, s63
	s_mov_b32 s59, s54
	v_pk_fma_f32 v[108:109], v[58:59], s[48:49], v[92:93] op_sel:[1,0,0]
	v_pk_mul_f32 v[110:111], v[32:33], s[72:73] op_sel_hi:[0,1]
	v_pk_add_f32 v[108:109], v[78:79], v[108:109] op_sel:[1,0]
	v_pk_fma_f32 v[112:113], v[56:57], s[58:59], v[110:111] op_sel:[1,0,0]
	s_mov_b32 s69, s66
	v_pk_add_f32 v[108:109], v[108:109], v[112:113]
	s_mov_b32 s64, s25
	s_mov_b32 s65, s55
	v_pk_mul_f32 v[112:113], v[34:35], s[68:69] op_sel_hi:[0,1]
	v_pk_fma_f32 v[114:115], v[54:55], s[64:65], v[112:113] op_sel:[1,0,0]
	s_mov_b32 s68, 0x3eb8f4ab
	s_mov_b32 s72, s61
	;; [unrolled: 1-line block ×3, first 2 shown]
	v_pk_add_f32 v[108:109], v[108:109], v[114:115]
	s_mov_b32 s52, s68
	v_pk_mul_f32 v[114:115], v[36:37], s[72:73] op_sel_hi:[0,1]
	v_pk_fma_f32 v[116:117], v[52:53], s[52:53], v[114:115] op_sel:[1,0,0]
	s_mov_b32 s72, s10
	s_mov_b32 s73, s62
	v_pk_add_f32 v[108:109], v[108:109], v[116:117]
	s_mov_b32 s51, s63
	v_pk_mul_f32 v[116:117], v[42:43], s[72:73] op_sel_hi:[0,1]
	v_pk_fma_f32 v[118:119], v[50:51], s[50:51], v[116:117] op_sel:[1,0,0]
	s_mov_b32 s72, s16
	s_mov_b32 s73, s14
	v_pk_add_f32 v[108:109], v[108:109], v[118:119]
	s_mov_b32 s44, s17
	v_pk_mul_f32 v[118:119], v[44:45], s[72:73] op_sel_hi:[0,1]
	v_pk_fma_f32 v[120:121], v[48:49], s[44:45], v[118:119] op_sel:[1,0,0]
	s_mov_b32 s39, s19
	v_pk_add_f32 v[108:109], v[108:109], v[120:121]
	v_pk_mul_f32 v[120:121], v[44:45], s[60:61] op_sel_hi:[0,1]
	s_mov_b32 s60, s18
	v_pk_mul_f32 v[122:123], v[30:31], s[60:61] op_sel_hi:[0,1]
	v_pk_fma_f32 v[124:125], v[46:47], s[38:39], v[122:123] op_sel:[1,0,0]
	s_mov_b32 s72, s66
	s_mov_b32 s73, s18
	v_pk_add_f32 v[108:109], v[108:109], v[124:125]
	s_mov_b32 s26, s55
	v_pk_mul_f32 v[124:125], v[38:39], s[72:73] op_sel_hi:[0,1]
	v_pk_fma_f32 v[126:127], v[40:41], s[26:27], v[124:125] op_sel:[1,0,0]
	s_mov_b32 s74, s66
	v_pk_add_f32 v[108:109], v[108:109], v[126:127]
	s_mov_b32 s75, s10
	ds_write2_b32 v5, v109, v108 offset0:12 offset1:13
	s_mov_b32 s72, s14
	s_mov_b32 s56, s67
	v_pk_mul_f32 v[108:109], v[80:81], s[74:75] op_sel:[1,0]
	v_pk_mul_f32 v[128:129], v[32:33], s[72:73] op_sel_hi:[0,1]
	v_pk_fma_f32 v[126:127], v[58:59], s[56:57], v[108:109] op_sel:[1,0,0]
	v_pk_fma_f32 v[130:131], v[56:57], s[20:21], v[128:129] op_sel:[1,0,0]
	v_pk_add_f32 v[126:127], v[78:79], v[126:127] op_sel:[1,0]
	s_mov_b32 s72, s18
	s_mov_b32 s73, s62
	v_pk_add_f32 v[126:127], v[126:127], v[130:131]
	s_mov_b32 s23, 0x3e3c28d5
	v_pk_mul_f32 v[130:131], v[34:35], s[72:73] op_sel_hi:[0,1]
	v_pk_fma_f32 v[132:133], v[54:55], s[22:23], v[130:131] op_sel:[1,0,0]
	s_mov_b32 s70, s62
	v_pk_add_f32 v[126:127], v[126:127], v[132:133]
	s_mov_b32 s24, s63
	v_pk_mul_f32 v[132:133], v[36:37], s[70:71] op_sel_hi:[0,1]
	v_pk_fma_f32 v[134:135], v[52:53], s[24:25], v[132:133] op_sel:[1,0,0]
	s_mov_b32 s70, s16
	s_mov_b32 s71, s66
	v_pk_add_f32 v[126:127], v[126:127], v[134:135]
	v_pk_mul_f32 v[134:135], v[42:43], s[70:71] op_sel_hi:[0,1]
	v_pk_fma_f32 v[136:137], v[50:51], s[54:55], v[134:135] op_sel:[1,0,0]
	s_mov_b32 s18, s25
	v_pk_add_f32 v[126:127], v[126:127], v[136:137]
	v_pk_fma_f32 v[136:137], v[48:49], s[18:19], v[120:121] op_sel:[1,0,0]
	s_mov_b32 s11, s14
	v_pk_add_f32 v[126:127], v[126:127], v[136:137]
	v_pk_mul_f32 v[136:137], v[30:31], s[10:11] op_sel_hi:[0,1]
	v_pk_fma_f32 v[138:139], v[46:47], s[12:13], v[136:137] op_sel:[1,0,0]
	s_mov_b32 s10, s61
	s_mov_b32 s11, s16
	v_pk_add_f32 v[126:127], v[126:127], v[138:139]
	s_mov_b32 s69, s17
	v_pk_mul_f32 v[138:139], v[38:39], s[10:11] op_sel_hi:[0,1]
	v_pk_fma_f32 v[140:141], v[40:41], s[68:69], v[138:139] op_sel:[1,0,0]
	v_mov_b32_e32 v151, 0x3f6eb680
	v_pk_add_f32 v[126:127], v[126:127], v[140:141]
	ds_write2_b32 v5, v127, v126 offset0:14 offset1:15
	v_mov_b32_e32 v28, v127
	v_mov_b32_e32 v126, v32
	;; [unrolled: 1-line block ×4, first 2 shown]
	v_mul_f32_e32 v153, 0xbeb8f4ab, v59
	v_mov_b32_e32 v152, v18
	v_pk_mul_f32 v[140:141], v[126:127], s[66:67]
	v_pk_fma_f32 v[150:151], v[80:81], v[150:151], v[152:153] neg_lo:[0,0,1] neg_hi:[0,0,1]
	v_pk_add_f32 v[152:153], v[80:81], v[26:27]
	v_mov_b32_e32 v1, v140
	v_pk_add_f32 v[152:153], v[152:153], v[18:19]
	v_pk_fma_f32 v[126:127], v[126:127], s[66:67], v[0:1] neg_lo:[1,0,0] neg_hi:[1,0,0]
	v_mov_b32_e32 v153, v151
	v_pk_add_f32 v[150:151], v[152:153], v[78:79]
	v_mov_b32_e32 v126, v12
	v_mov_b32_e32 v142, v30
	;; [unrolled: 1-line block ×3, first 2 shown]
	v_pk_add_f32 v[126:127], v[126:127], v[150:151]
	v_mov_b32_e32 v82, v14
	v_pk_mul_f32 v[144:145], v[142:143], s[16:17]
	v_mov_b32_e32 v146, v38
	v_mov_b32_e32 v147, v41
	v_pk_add_f32 v[82:83], v[82:83], v[126:127]
	v_mov_b32_e32 v84, v24
	v_mov_b32_e32 v1, v144
	v_pk_mul_f32 v[148:149], v[146:147], s[62:63]
	v_pk_add_f32 v[82:83], v[84:85], v[82:83]
	v_mov_b32_e32 v86, v22
	v_pk_fma_f32 v[142:143], v[142:143], s[16:17], v[0:1] neg_lo:[1,0,0] neg_hi:[1,0,0]
	v_mov_b32_e32 v1, v148
	v_pk_add_f32 v[82:83], v[86:87], v[82:83]
	v_mov_b32_e32 v88, v20
	v_pk_fma_f32 v[146:147], v[146:147], s[62:63], v[0:1] neg_lo:[1,0,0] neg_hi:[1,0,0]
	v_pk_add_f32 v[82:83], v[88:89], v[82:83]
	v_mov_b32_e32 v142, v16
	v_pk_add_f32 v[82:83], v[142:143], v[82:83]
	v_mov_b32_e32 v146, v8
	v_pk_add_f32 v[82:83], v[146:147], v[82:83]
	v_pk_fma_f32 v[84:85], v[58:59], s[56:57], v[108:109] op_sel:[1,0,0] neg_lo:[1,0,0] neg_hi:[1,0,0]
	ds_write2_b32 v5, v82, v83 offset1:1
	v_pk_fma_f32 v[82:83], v[56:57], s[20:21], v[128:129] op_sel:[1,0,0] neg_lo:[1,0,0] neg_hi:[1,0,0]
	v_pk_add_f32 v[84:85], v[78:79], v[84:85] op_sel:[1,0]
	v_mul_f32_e32 v8, 0x3f6eb680, v32
	v_pk_add_f32 v[82:83], v[84:85], v[82:83]
	v_pk_fma_f32 v[84:85], v[54:55], s[22:23], v[130:131] op_sel:[1,0,0] neg_lo:[1,0,0] neg_hi:[1,0,0]
	v_mul_f32_e32 v12, 0x3eb8f4ab, v57
	v_pk_add_f32 v[82:83], v[82:83], v[84:85]
	v_pk_fma_f32 v[84:85], v[52:53], s[24:25], v[132:133] op_sel:[1,0,0] neg_lo:[1,0,0] neg_hi:[1,0,0]
	;; [unrolled: 3-line block ×3, first 2 shown]
	v_fmac_f32_e32 v22, 0xbeb8f4ab, v59
	v_pk_add_f32 v[82:83], v[82:83], v[84:85]
	v_pk_fma_f32 v[84:85], v[48:49], s[18:19], v[120:121] op_sel:[1,0,0] neg_lo:[1,0,0] neg_hi:[1,0,0]
	v_add_f32_e32 v1, v141, v140
	v_pk_add_f32 v[82:83], v[82:83], v[84:85]
	v_pk_fma_f32 v[84:85], v[46:47], s[12:13], v[136:137] op_sel:[1,0,0] neg_lo:[1,0,0] neg_hi:[1,0,0]
	v_add_f32_e32 v6, v6, v22
	;; [unrolled: 3-line block ×3, first 2 shown]
	v_pk_add_f32 v[82:83], v[82:83], v[84:85]
	v_pk_fma_f32 v[84:85], v[58:59], s[48:49], v[92:93] op_sel:[1,0,0] neg_lo:[1,0,0] neg_hi:[1,0,0]
	ds_write2_b32 v5, v82, v83 offset0:2 offset1:3
	v_pk_fma_f32 v[82:83], v[56:57], s[58:59], v[110:111] op_sel:[1,0,0] neg_lo:[1,0,0] neg_hi:[1,0,0]
	v_pk_add_f32 v[84:85], v[78:79], v[84:85] op_sel:[1,0]
	v_add_f32_e32 v14, v75, v74
	v_pk_add_f32 v[82:83], v[84:85], v[82:83]
	v_pk_fma_f32 v[84:85], v[54:55], s[64:65], v[112:113] op_sel:[1,0,0] neg_lo:[1,0,0] neg_hi:[1,0,0]
	v_add_f32_e32 v16, v77, v76
	v_pk_add_f32 v[82:83], v[82:83], v[84:85]
	v_pk_fma_f32 v[84:85], v[52:53], s[52:53], v[114:115] op_sel:[1,0,0] neg_lo:[1,0,0] neg_hi:[1,0,0]
	;; [unrolled: 3-line block ×4, first 2 shown]
	s_nop 0
	v_pk_add_f32 v[82:83], v[82:83], v[84:85]
	v_pk_fma_f32 v[84:85], v[46:47], s[38:39], v[122:123] op_sel:[1,0,0] neg_lo:[1,0,0] neg_hi:[1,0,0]
	s_nop 0
	v_pk_add_f32 v[82:83], v[82:83], v[84:85]
	v_pk_fma_f32 v[84:85], v[40:41], s[26:27], v[124:125] op_sel:[1,0,0] neg_lo:[1,0,0] neg_hi:[1,0,0]
	;; [unrolled: 3-line block ×3, first 2 shown]
	ds_write2_b32 v5, v82, v83 offset0:4 offset1:5
	v_pk_fma_f32 v[82:83], v[56:57], s[28:29], v[94:95] op_sel:[1,0,0] neg_lo:[1,0,0] neg_hi:[1,0,0]
	v_pk_add_f32 v[84:85], v[78:79], v[84:85] op_sel:[1,0]
	s_nop 0
	v_pk_add_f32 v[82:83], v[84:85], v[82:83]
	v_pk_fma_f32 v[84:85], v[54:55], s[34:35], v[96:97] op_sel:[1,0,0] neg_lo:[1,0,0] neg_hi:[1,0,0]
	s_nop 0
	v_pk_add_f32 v[82:83], v[82:83], v[84:85]
	v_pk_fma_f32 v[84:85], v[52:53], s[36:37], v[98:99] op_sel:[1,0,0] neg_lo:[1,0,0] neg_hi:[1,0,0]
	;; [unrolled: 3-line block ×6, first 2 shown]
	s_nop 0
	v_pk_add_f32 v[82:83], v[82:83], v[84:85]
	ds_write2_b32 v5, v82, v83 offset0:6 offset1:7
	v_pk_add_f32 v[82:83], v[8:9], v[12:13] neg_lo:[0,1] neg_hi:[0,1]
	v_pk_add_f32 v[84:85], v[8:9], v[12:13]
	v_mul_f32_e32 v8, 0xbf59a7d5, v34
	v_mul_f32_e32 v12, 0xbf06c442, v55
	v_mov_b32_e32 v83, v84
	v_pk_add_f32 v[84:85], v[8:9], v[12:13] neg_lo:[0,1] neg_hi:[0,1]
	v_pk_add_f32 v[86:87], v[8:9], v[12:13]
	v_mul_f32_e32 v8, 0x3f3d2fb0, v36
	v_mul_f32_e32 v12, 0x3f2c7751, v53
	v_mov_b32_e32 v85, v86
	;; [unrolled: 5-line block ×7, first 2 shown]
	v_pk_add_f32 v[96:97], v[12:13], v[8:9] neg_lo:[0,1] neg_hi:[0,1]
	v_pk_add_f32 v[98:99], v[12:13], v[8:9]
	v_add_f32_e32 v8, v71, v70
	v_mov_b32_e32 v97, v98
	v_pk_add_f32 v[78:79], v[78:79], v[96:97] op_sel:[1,0]
	v_add_f32_e32 v12, v73, v72
	v_pk_add_f32 v[78:79], v[78:79], v[82:83]
	v_add_f32_e32 v1, v1, v8
	v_pk_add_f32 v[78:79], v[78:79], v[84:85]
	;; [unrolled: 2-line block ×7, first 2 shown]
	ds_write2_b32 v5, v78, v79 offset0:8 offset1:9
	ds_write_b32 v5, v1 offset:64
.LBB0_15:
	s_or_b64 exec, exec, s[2:3]
	v_lshl_add_u32 v1, v0, 2, 0
	v_add_u32_e32 v82, 0x400, v1
	v_add_u32_e32 v81, 0xa00, v1
	v_add_u32_e32 v80, 0xf00, v1
	v_add_u32_e32 v5, 0x1400, v1
	s_waitcnt lgkmcnt(0)
	s_barrier
	ds_read2_b32 v[70:71], v1 offset1:170
	ds_read2_b32 v[78:79], v82 offset0:84 offset1:254
	ds_read2_b32 v[76:77], v81 offset0:40 offset1:210
	;; [unrolled: 1-line block ×4, first 2 shown]
	s_waitcnt lgkmcnt(0)
	s_barrier
	s_and_saveexec_b64 s[2:3], vcc
	s_cbranch_execz .LBB0_17
; %bb.16:
	v_mov_b32_e32 v6, v61
	v_pk_add_f32 v[60:61], v[6:7], v[10:11]
	s_mov_b32 s12, 0x3f3d2fb0
	v_pk_add_f32 v[60:61], v[60:61], v[68:69]
	s_mov_b32 s13, 0xbf2c7751
	;; [unrolled: 2-line block ×4, first 2 shown]
	v_pk_add_f32 v[60:61], v[60:61], v[62:63]
	v_mov_b32_e32 v62, v33
	v_mov_b32_e32 v63, v56
	v_pk_mul_f32 v[66:67], v[62:63], s[12:13]
	s_mov_b32 s17, 0xbf7ee86f
	v_mov_b32_e32 v69, v66
	v_pk_fma_f32 v[84:85], v[62:63], s[12:13], v[68:69]
	v_mov_b32_e32 v62, v35
	v_mov_b32_e32 v63, v54
	v_sub_f32_e32 v83, v66, v67
	v_pk_mul_f32 v[66:67], v[62:63], s[6:7]
	s_mov_b32 s16, 0x3dbcf732
	v_mov_b32_e32 v69, v66
	v_pk_fma_f32 v[86:87], v[62:63], s[6:7], v[68:69]
	v_mov_b32_e32 v62, v37
	v_mov_b32_e32 v63, v52
	v_sub_f32_e32 v98, v66, v67
	v_pk_mul_f32 v[66:67], v[62:63], s[16:17]
	s_mov_b32 s22, 0xbe8c1d8e
	v_mov_b32_e32 v69, v66
	v_pk_fma_f32 v[88:89], v[62:63], s[16:17], v[68:69]
	v_mov_b32_e32 v62, v43
	v_mov_b32_e32 v63, v50
	s_mov_b32 s23, 0xbf763a35
	v_sub_f32_e32 v99, v66, v67
	v_pk_mul_f32 v[66:67], v[62:63], s[22:23]
	s_mov_b32 s24, 0xbf1a4643
	v_mov_b32_e32 v69, v66
	v_pk_fma_f32 v[90:91], v[62:63], s[22:23], v[68:69]
	s_mov_b32 s25, 0xbf4c4adb
	v_mov_b32_e32 v62, v45
	v_mov_b32_e32 v63, v48
	v_sub_f32_e32 v100, v66, v67
	v_pk_mul_f32 v[66:67], v[62:63], s[24:25]
	v_mov_b32_e32 v10, v61
	v_mov_b32_e32 v69, v66
	;; [unrolled: 1-line block ×3, first 2 shown]
	v_pk_fma_f32 v[92:93], v[62:63], s[24:25], v[68:69]
	v_pk_add_f32 v[68:69], v[10:11], v[8:9]
	v_mov_b32_e32 v11, 0x3f6eb680
	v_mov_b32_e32 v10, v27
	v_pk_add_f32 v[96:97], v[68:69], v[10:11]
	v_pk_mul_f32 v[10:11], v[68:69], v[10:11]
	v_mul_f32_e32 v65, 0xbeb8f4ab, v58
	v_mov_b32_e32 v97, v11
	v_fmac_f32_e32 v11, 0x3eb8f4ab, v58
	v_mov_b32_e32 v64, v19
	v_add_f32_e32 v8, v7, v11
	v_pk_add_f32 v[64:65], v[96:97], v[64:65]
	v_add_f32_e32 v8, v8, v83
	s_mov_b32 s20, 0xbf59a7d5
	v_pk_add_f32 v[64:65], v[64:65], v[6:7]
	v_mov_b32_e32 v84, v13
	v_add_f32_e32 v8, v8, v98
	s_mov_b32 s10, 0xbf7ba420
	s_mov_b32 s21, 0xbf06c442
	v_sub_f32_e32 v101, v66, v67
	v_mov_b32_e32 v66, v31
	v_mov_b32_e32 v67, v46
	v_pk_add_f32 v[64:65], v[84:85], v[64:65]
	v_mov_b32_e32 v86, v15
	v_add_f32_e32 v8, v8, v99
	s_mov_b32 s11, 0xbe3c28d5
	v_pk_mul_f32 v[94:95], v[66:67], s[20:21]
	v_pk_add_f32 v[64:65], v[86:87], v[64:65]
	v_mov_b32_e32 v88, v25
	v_add_f32_e32 v8, v8, v100
	v_mov_b32_e32 v86, v39
	v_mov_b32_e32 v87, v40
	v_mul_f32_e32 v62, 0x3f65296c, v48
	v_mov_b32_e32 v63, v94
	v_pk_add_f32 v[64:65], v[88:89], v[64:65]
	v_mov_b32_e32 v90, v23
	v_add_f32_e32 v8, v8, v101
	v_sub_f32_e32 v10, v94, v95
	v_pk_mul_f32 v[88:89], v[86:87], s[10:11]
	v_pk_fma_f32 v[66:67], v[66:67], s[20:21], v[62:63]
	v_pk_add_f32 v[64:65], v[90:91], v[64:65]
	v_mov_b32_e32 v92, v21
	v_add_f32_e32 v13, v8, v10
	v_mul_f32_e32 v10, 0xbe8c1d8e, v31
	v_mov_b32_e32 v11, v88
	v_pk_add_f32 v[64:65], v[92:93], v[64:65]
	v_mov_b32_e32 v66, v17
	v_pk_fma_f32 v[86:87], v[86:87], s[10:11], v[10:11]
	v_pk_add_f32 v[84:85], v[66:67], v[64:65]
	v_mov_b32_e32 v86, v9
	s_mov_b32 s34, s13
	s_mov_b32 s35, s7
	v_pk_add_f32 v[8:9], v[86:87], v[84:85]
	v_pk_mul_f32 v[84:85], v[58:59], s[34:35] op_sel_hi:[0,1]
	s_mov_b32 s34, s17
	s_mov_b32 s35, s25
	;; [unrolled: 1-line block ×6, first 2 shown]
	v_pk_mul_f32 v[86:87], v[56:57], s[34:35] op_sel_hi:[0,1]
	s_mov_b32 s35, 0x3e3c28d5
	s_mov_b32 s34, s25
	v_pk_fma_f32 v[106:107], v[68:69], s[44:45], v[84:85] op_sel:[1,0,0]
	v_sub_f32_e32 v11, v88, v89
	v_pk_fma_f32 v[88:89], v[32:33], s[36:37], v[86:87] op_sel:[1,0,0]
	s_mov_b32 s38, s24
	s_mov_b32 s39, s10
	v_pk_mul_f32 v[90:91], v[54:55], s[34:35] op_sel_hi:[0,1]
	s_mov_b32 s35, 0x3f763a35
	s_mov_b32 s34, s11
	v_pk_add_f32 v[106:107], v[6:7], v[106:107] op_sel:[1,0]
	s_mov_b32 s27, 0x3f2c7751
	v_pk_fma_f32 v[92:93], v[34:35], s[38:39], v[90:91] op_sel:[1,0,0]
	s_mov_b32 s40, s10
	s_mov_b32 s41, s22
	v_pk_mul_f32 v[94:95], v[52:53], s[34:35] op_sel_hi:[0,1]
	s_mov_b32 s26, 0x3f06c442
	v_pk_add_f32 v[88:89], v[106:107], v[88:89]
	s_mov_b32 s15, 0xbeb8f4ab
	v_pk_fma_f32 v[96:97], v[36:37], s[40:41], v[94:95] op_sel:[1,0,0]
	s_mov_b32 s42, s20
	s_mov_b32 s43, s12
	v_pk_mul_f32 v[98:99], v[50:51], s[26:27] op_sel_hi:[0,1]
	s_mov_b32 s14, s35
	v_pk_add_f32 v[88:89], v[88:89], v[92:93]
	s_mov_b32 s19, 0x3f6eb680
	s_mov_b32 s28, 0x3f65296c
	v_pk_fma_f32 v[100:101], v[42:43], s[42:43], v[98:99] op_sel:[1,0,0]
	s_mov_b32 s18, s22
	v_pk_mul_f32 v[102:103], v[48:49], s[14:15] op_sel_hi:[0,1]
	v_pk_add_f32 v[88:89], v[88:89], v[96:97]
	s_mov_b32 s29, s17
	v_pk_fma_f32 v[84:85], v[68:69], s[44:45], v[84:85] op_sel:[1,0,0] neg_lo:[0,0,1] neg_hi:[0,0,1]
	v_pk_fma_f32 v[104:105], v[44:45], s[18:19], v[102:103] op_sel:[1,0,0]
	v_pk_add_f32 v[88:89], v[88:89], v[100:101]
	s_mov_b32 s46, s6
	s_mov_b32 s47, s16
	v_pk_mul_f32 v[92:93], v[46:47], s[28:29] op_sel_hi:[0,1]
	v_pk_fma_f32 v[86:87], v[32:33], s[36:37], v[86:87] op_sel:[1,0,0] neg_lo:[0,0,1] neg_hi:[0,0,1]
	v_pk_add_f32 v[84:85], v[6:7], v[84:85] op_sel:[1,0]
	s_mov_b32 s30, 0x3eb8f4ab
	v_pk_add_f32 v[88:89], v[88:89], v[104:105]
	v_pk_fma_f32 v[96:97], v[30:31], s[46:47], v[92:93] op_sel:[1,0,0]
	s_mov_b32 s31, s21
	v_pk_fma_f32 v[90:91], v[34:35], s[38:39], v[90:91] op_sel:[1,0,0] neg_lo:[0,0,1] neg_hi:[0,0,1]
	v_pk_add_f32 v[84:85], v[84:85], v[86:87]
	v_pk_add_f32 v[88:89], v[88:89], v[96:97]
	s_mov_b32 s48, s19
	s_mov_b32 s49, s20
	v_pk_mul_f32 v[96:97], v[40:41], s[30:31] op_sel_hi:[0,1]
	v_pk_fma_f32 v[94:95], v[36:37], s[40:41], v[94:95] op_sel:[1,0,0] neg_lo:[0,0,1] neg_hi:[0,0,1]
	v_pk_add_f32 v[84:85], v[84:85], v[90:91]
	v_pk_fma_f32 v[100:101], v[38:39], s[48:49], v[96:97] op_sel:[1,0,0]
	v_pk_fma_f32 v[98:99], v[42:43], s[42:43], v[98:99] op_sel:[1,0,0] neg_lo:[0,0,1] neg_hi:[0,0,1]
	v_pk_add_f32 v[84:85], v[84:85], v[94:95]
	v_pk_add_f32 v[88:89], v[88:89], v[100:101]
	v_pk_fma_f32 v[100:101], v[44:45], s[18:19], v[102:103] op_sel:[1,0,0] neg_lo:[0,0,1] neg_hi:[0,0,1]
	v_pk_add_f32 v[84:85], v[84:85], v[98:99]
	v_pk_fma_f32 v[86:87], v[30:31], s[46:47], v[92:93] op_sel:[1,0,0] neg_lo:[0,0,1] neg_hi:[0,0,1]
	v_pk_add_f32 v[84:85], v[84:85], v[100:101]
	s_mov_b32 s36, s17
	v_pk_add_f32 v[84:85], v[84:85], v[86:87]
	v_pk_fma_f32 v[86:87], v[38:39], s[48:49], v[96:97] op_sel:[1,0,0] neg_lo:[0,0,1] neg_hi:[0,0,1]
	s_mov_b32 s37, s23
	v_pk_add_f32 v[84:85], v[84:85], v[86:87]
	v_pk_mul_f32 v[86:87], v[58:59], s[36:37] op_sel_hi:[0,1]
	s_mov_b32 s38, s11
	s_mov_b32 s39, s26
	;; [unrolled: 1-line block ×6, first 2 shown]
	v_pk_mul_f32 v[90:91], v[56:57], s[38:39] op_sel_hi:[0,1]
	s_mov_b32 s26, s35
	v_pk_fma_f32 v[110:111], v[68:69], s[46:47], v[86:87] op_sel:[1,0,0]
	v_pk_fma_f32 v[92:93], v[32:33], s[36:37], v[90:91] op_sel:[1,0,0]
	s_mov_b32 s38, s22
	s_mov_b32 s39, s12
	v_pk_mul_f32 v[94:95], v[54:55], s[26:27] op_sel_hi:[0,1]
	s_mov_b32 s31, s7
	v_pk_add_f32 v[110:111], v[6:7], v[110:111] op_sel:[1,0]
	v_pk_fma_f32 v[96:97], v[34:35], s[38:39], v[94:95] op_sel:[1,0,0]
	s_mov_b32 s40, s19
	s_mov_b32 s41, s6
	v_pk_mul_f32 v[98:99], v[52:53], s[30:31] op_sel_hi:[0,1]
	s_mov_b32 s42, s7
	s_mov_b32 s43, s11
	v_pk_add_f32 v[92:93], v[110:111], v[92:93]
	v_pk_fma_f32 v[100:101], v[36:37], s[40:41], v[98:99] op_sel:[1,0,0]
	s_mov_b32 s30, s6
	s_mov_b32 s31, s10
	v_pk_mul_f32 v[102:103], v[50:51], s[42:43] op_sel_hi:[0,1]
	s_mov_b32 s45, 0x3f7ee86f
	s_mov_b32 s44, s21
	v_pk_add_f32 v[92:93], v[92:93], v[96:97]
	v_pk_fma_f32 v[104:105], v[42:43], s[30:31], v[102:103] op_sel:[1,0,0]
	s_mov_b32 s42, s20
	s_mov_b32 s43, s16
	v_pk_mul_f32 v[106:107], v[48:49], s[44:45] op_sel_hi:[0,1]
	v_pk_add_f32 v[92:93], v[92:93], v[100:101]
	s_mov_b32 s14, 0x3f4c4adb
	v_pk_fma_f32 v[86:87], v[68:69], s[46:47], v[86:87] op_sel:[1,0,0] neg_lo:[0,0,1] neg_hi:[0,0,1]
	v_pk_fma_f32 v[108:109], v[44:45], s[42:43], v[106:107] op_sel:[1,0,0]
	v_pk_add_f32 v[92:93], v[92:93], v[104:105]
	s_mov_b32 s18, s24
	v_pk_mul_f32 v[96:97], v[46:47], s[14:15] op_sel_hi:[0,1]
	v_pk_fma_f32 v[90:91], v[32:33], s[36:37], v[90:91] op_sel:[1,0,0] neg_lo:[0,0,1] neg_hi:[0,0,1]
	v_pk_add_f32 v[86:87], v[6:7], v[86:87] op_sel:[1,0]
	v_pk_add_f32 v[92:93], v[92:93], v[108:109]
	v_pk_fma_f32 v[100:101], v[30:31], s[18:19], v[96:97] op_sel:[1,0,0]
	s_mov_b32 s50, s27
	s_mov_b32 s51, s25
	v_pk_fma_f32 v[94:95], v[34:35], s[38:39], v[94:95] op_sel:[1,0,0] neg_lo:[0,0,1] neg_hi:[0,0,1]
	v_pk_add_f32 v[86:87], v[86:87], v[90:91]
	v_pk_add_f32 v[92:93], v[92:93], v[100:101]
	s_mov_b32 s48, s12
	s_mov_b32 s49, s24
	v_pk_mul_f32 v[100:101], v[40:41], s[50:51] op_sel_hi:[0,1]
	v_pk_fma_f32 v[98:99], v[36:37], s[40:41], v[98:99] op_sel:[1,0,0] neg_lo:[0,0,1] neg_hi:[0,0,1]
	v_pk_add_f32 v[86:87], v[86:87], v[94:95]
	v_pk_fma_f32 v[104:105], v[38:39], s[48:49], v[100:101] op_sel:[1,0,0]
	v_pk_fma_f32 v[102:103], v[42:43], s[30:31], v[102:103] op_sel:[1,0,0] neg_lo:[0,0,1] neg_hi:[0,0,1]
	v_pk_add_f32 v[86:87], v[86:87], v[98:99]
	s_mov_b32 s34, s35
	s_mov_b32 s35, s28
	v_mul_f32_e32 v16, 0x3eb8f4ab, v56
	v_pk_add_f32 v[92:93], v[92:93], v[104:105]
	v_pk_fma_f32 v[104:105], v[44:45], s[42:43], v[106:107] op_sel:[1,0,0] neg_lo:[0,0,1] neg_hi:[0,0,1]
	v_pk_add_f32 v[86:87], v[86:87], v[102:103]
	v_pk_fma_f32 v[90:91], v[30:31], s[18:19], v[96:97] op_sel:[1,0,0] neg_lo:[0,0,1] neg_hi:[0,0,1]
	s_mov_b32 s30, s25
	s_mov_b32 s31, s21
	v_pk_mul_f32 v[56:57], v[56:57], s[34:35] op_sel_hi:[0,1]
	s_mov_b32 s34, s19
	s_mov_b32 s37, s17
	;; [unrolled: 1-line block ×7, first 2 shown]
	v_mul_f32_e32 v12, 0xbe3c28d5, v58
	v_mul_f32_e32 v28, 0xbf4c4adb, v50
	v_pk_add_f32 v[86:87], v[86:87], v[104:105]
	v_pk_mul_f32 v[58:59], v[58:59], s[30:31] op_sel_hi:[0,1]
	s_mov_b32 s36, s15
	v_pk_mul_f32 v[50:51], v[50:51], s[14:15] op_sel_hi:[0,1]
	s_mov_b32 s14, s12
	s_mov_b32 s15, s10
	v_pk_mul_f32 v[48:49], v[48:49], s[18:19] op_sel_hi:[0,1]
	s_mov_b32 s25, s20
	v_mul_f32_e32 v60, 0x3ee437d1, v45
	v_pk_add_f32 v[86:87], v[86:87], v[90:91]
	v_pk_fma_f32 v[90:91], v[38:39], s[48:49], v[100:101] op_sel:[1,0,0] neg_lo:[0,0,1] neg_hi:[0,0,1]
	s_mov_b32 s30, s22
	s_mov_b32 s31, s6
	v_pk_fma_f32 v[100:101], v[44:45], s[14:15], v[48:49] op_sel:[1,0,0]
	v_pk_fma_f32 v[44:45], v[44:45], s[14:15], v[48:49] op_sel:[1,0,0] neg_lo:[0,0,1] neg_hi:[0,0,1]
	v_pk_fma_f32 v[48:49], v[68:69], s[24:25], v[58:59] op_sel:[1,0,0] neg_lo:[0,0,1] neg_hi:[0,0,1]
	v_mul_f32_e32 v14, 0x3f6eb680, v33
	v_mul_f32_e32 v20, 0xbf06c442, v54
	v_pk_add_f32 v[86:87], v[86:87], v[90:91]
	v_pk_fma_f32 v[90:91], v[32:33], s[30:31], v[56:57] op_sel:[1,0,0]
	s_mov_b32 s35, s16
	v_pk_mul_f32 v[54:55], v[54:55], s[36:37] op_sel_hi:[0,1]
	s_mov_b32 s38, s21
	v_pk_fma_f32 v[32:33], v[32:33], s[30:31], v[56:57] op_sel:[1,0,0] neg_lo:[0,0,1] neg_hi:[0,0,1]
	v_pk_add_f32 v[48:49], v[6:7], v[48:49] op_sel:[1,0]
	v_mul_f32_e32 v18, 0xbf59a7d5, v35
	v_mul_f32_e32 v24, 0x3f2c7751, v52
	v_pk_fma_f32 v[94:95], v[34:35], s[34:35], v[54:55] op_sel:[1,0,0]
	s_mov_b32 s36, s20
	s_mov_b32 s37, s24
	v_pk_mul_f32 v[52:53], v[52:53], s[38:39] op_sel_hi:[0,1]
	v_pk_fma_f32 v[34:35], v[34:35], s[34:35], v[54:55] op_sel:[1,0,0] neg_lo:[0,0,1] neg_hi:[0,0,1]
	v_pk_add_f32 v[32:33], v[48:49], v[32:33]
	v_mul_f32_e32 v22, 0x3f3d2fb0, v37
	v_pk_fma_f32 v[96:97], v[36:37], s[36:37], v[52:53] op_sel:[1,0,0]
	v_pk_fma_f32 v[36:37], v[36:37], s[36:37], v[52:53] op_sel:[1,0,0] neg_lo:[0,0,1] neg_hi:[0,0,1]
	v_pk_add_f32 v[32:33], v[32:33], v[34:35]
	v_add_f32_e32 v25, v13, v11
	v_pk_add_f32 v[32:33], v[32:33], v[36:37]
	v_pk_add_f32 v[36:37], v[14:15], v[16:17]
	v_pk_add_f32 v[14:15], v[14:15], v[16:17] neg_lo:[0,1] neg_hi:[0,1]
	v_pk_add_f32 v[16:17], v[18:19], v[20:21] neg_lo:[0,1] neg_hi:[0,1]
	v_mov_b32_e32 v37, v14
	v_pk_add_f32 v[14:15], v[18:19], v[20:21]
	v_mul_f32_e32 v26, 0xbf1a4643, v43
	v_mov_b32_e32 v15, v16
	v_pk_add_f32 v[16:17], v[22:23], v[24:25]
	v_pk_add_f32 v[18:19], v[22:23], v[24:25] neg_lo:[0,1] neg_hi:[0,1]
	v_pk_fma_f32 v[102:103], v[68:69], s[24:25], v[58:59] op_sel:[1,0,0]
	v_mov_b32_e32 v17, v18
	v_pk_add_f32 v[18:19], v[26:27], v[28:29]
	v_pk_add_f32 v[20:21], v[26:27], v[28:29] neg_lo:[0,1] neg_hi:[0,1]
	v_mul_f32_e32 v66, 0xbf7ba420, v69
	v_pk_add_f32 v[102:103], v[6:7], v[102:103] op_sel:[1,0]
	v_mov_b32_e32 v19, v20
	v_pk_add_f32 v[20:21], v[60:61], v[62:63]
	v_pk_add_f32 v[22:23], v[60:61], v[62:63] neg_lo:[0,1] neg_hi:[0,1]
	v_pk_add_f32 v[90:91], v[102:103], v[90:91]
	v_mov_b32_e32 v21, v22
	v_pk_add_f32 v[22:23], v[66:67], v[12:13]
	v_pk_add_f32 v[12:13], v[66:67], v[12:13] neg_lo:[0,1] neg_hi:[0,1]
	v_pk_add_f32 v[90:91], v[90:91], v[94:95]
	v_mov_b32_e32 v23, v12
	v_pk_fma_f32 v[98:99], v[42:43], s[16:17], v[50:51] op_sel:[1,0,0]
	v_pk_add_f32 v[90:91], v[90:91], v[96:97]
	s_mov_b32 s26, s11
	v_pk_add_f32 v[6:7], v[6:7], v[22:23] op_sel:[1,0]
	v_mul_f32_e32 v64, 0xbf763a35, v46
	v_pk_add_f32 v[90:91], v[90:91], v[98:99]
	s_mov_b32 s18, s10
	s_mov_b32 s19, s12
	v_pk_mul_f32 v[46:47], v[46:47], s[26:27] op_sel_hi:[0,1]
	v_pk_fma_f32 v[42:43], v[42:43], s[16:17], v[50:51] op_sel:[1,0,0] neg_lo:[0,0,1] neg_hi:[0,0,1]
	v_pk_add_f32 v[6:7], v[6:7], v[36:37]
	v_pk_add_f32 v[90:91], v[90:91], v[100:101]
	v_pk_fma_f32 v[94:95], v[30:31], s[18:19], v[46:47] op_sel:[1,0,0]
	s_mov_b32 s29, s23
	v_pk_add_f32 v[32:33], v[32:33], v[42:43]
	v_pk_add_f32 v[6:7], v[6:7], v[14:15]
	;; [unrolled: 1-line block ×3, first 2 shown]
	s_mov_b32 s7, s22
	v_pk_mul_f32 v[94:95], v[40:41], s[28:29] op_sel_hi:[0,1]
	v_pk_add_f32 v[32:33], v[32:33], v[44:45]
	v_pk_fma_f32 v[30:31], v[30:31], s[18:19], v[46:47] op_sel:[1,0,0] neg_lo:[0,0,1] neg_hi:[0,0,1]
	v_pk_add_f32 v[6:7], v[6:7], v[16:17]
	v_pk_add_f32 v[30:31], v[32:33], v[30:31]
	v_pk_fma_f32 v[32:33], v[38:39], s[6:7], v[94:95] op_sel:[1,0,0] neg_lo:[0,0,1] neg_hi:[0,0,1]
	v_pk_add_f32 v[6:7], v[6:7], v[18:19]
	v_pk_add_f32 v[12:13], v[10:11], v[64:65]
	v_pk_add_f32 v[10:11], v[10:11], v[64:65] neg_lo:[0,1] neg_hi:[0,1]
	v_pk_add_f32 v[30:31], v[30:31], v[32:33]
	v_mul_f32_e32 v32, 0x3dbcf732, v39
	v_mul_f32_e32 v34, 0x3f7ee86f, v40
	v_pk_add_f32 v[6:7], v[6:7], v[20:21]
	v_mov_b32_e32 v13, v10
	v_pk_add_f32 v[6:7], v[6:7], v[12:13]
	v_pk_add_f32 v[10:11], v[32:33], v[34:35]
	v_pk_add_f32 v[12:13], v[32:33], v[34:35] neg_lo:[0,1] neg_hi:[0,1]
	v_pk_fma_f32 v[96:97], v[38:39], s[6:7], v[94:95] op_sel:[1,0,0]
	v_mov_b32_e32 v11, v12
	v_pk_add_f32 v[6:7], v[6:7], v[10:11]
	v_lshl_add_u32 v10, v0, 6, v1
	v_pk_add_f32 v[90:91], v[90:91], v[96:97]
	ds_write2_b32 v10, v8, v9 offset1:1
	ds_write2_b32 v10, v88, v89 offset0:2 offset1:3
	ds_write2_b32 v10, v92, v93 offset0:4 offset1:5
	;; [unrolled: 1-line block ×7, first 2 shown]
	ds_write_b32 v10, v25 offset:64
.LBB0_17:
	s_or_b64 exec, exec, s[2:3]
	s_movk_i32 s2, 0xf1
	v_mul_lo_u16_sdwa v6, v0, s2 dst_sel:DWORD dst_unused:UNUSED_PAD src0_sel:BYTE_0 src1_sel:DWORD
	v_lshrrev_b16_e32 v34, 12, v6
	v_mul_lo_u16_e32 v6, 17, v34
	v_sub_u16_e32 v35, v0, v6
	v_mov_b32_e32 v6, 9
	v_mul_u32_u24_sdwa v6, v35, v6 dst_sel:DWORD dst_unused:UNUSED_PAD src0_sel:BYTE_0 src1_sel:DWORD
	v_lshlrev_b32_e32 v6, 3, v6
	s_waitcnt lgkmcnt(0)
	s_barrier
	global_load_dwordx4 v[8:11], v6, s[4:5]
	global_load_dwordx4 v[12:15], v6, s[4:5] offset:16
	global_load_dwordx4 v[16:19], v6, s[4:5] offset:32
	;; [unrolled: 1-line block ×3, first 2 shown]
	global_load_dwordx2 v[24:25], v6, s[4:5] offset:64
	ds_read2_b32 v[6:7], v1 offset1:170
	ds_read2_b32 v[26:27], v82 offset0:84 offset1:254
	ds_read2_b32 v[28:29], v81 offset0:40 offset1:210
	;; [unrolled: 1-line block ×4, first 2 shown]
	s_mov_b32 s10, 0x3f737871
	s_mov_b32 s14, 0xbf737871
	;; [unrolled: 1-line block ×4, first 2 shown]
	s_waitcnt lgkmcnt(0)
	s_barrier
	s_mov_b32 s6, 0x3e9e377a
	s_mov_b32 s16, 0x3f4f1bbd
	s_waitcnt vmcnt(4)
	v_mul_f32_e32 v36, v7, v9
	v_mul_f32_e32 v9, v71, v9
	;; [unrolled: 1-line block ×4, first 2 shown]
	s_waitcnt vmcnt(3)
	v_mul_f32_e32 v39, v28, v15
	v_mul_f32_e32 v15, v76, v15
	s_waitcnt vmcnt(2)
	v_mul_f32_e32 v41, v30, v19
	v_mul_f32_e32 v38, v27, v13
	;; [unrolled: 1-line block ×6, first 2 shown]
	s_waitcnt vmcnt(1)
	v_mul_f32_e32 v42, v31, v21
	v_mul_f32_e32 v21, v75, v21
	;; [unrolled: 1-line block ×4, first 2 shown]
	s_waitcnt vmcnt(0)
	v_mul_f32_e32 v44, v33, v25
	v_mul_f32_e32 v25, v73, v25
	v_fmac_f32_e32 v9, v7, v8
	v_fma_f32 v7, v78, v10, -v37
	v_fmac_f32_e32 v11, v26, v10
	v_fma_f32 v10, v76, v14, -v39
	;; [unrolled: 2-line block ×3, first 2 shown]
	v_fma_f32 v36, v71, v8, -v36
	v_fma_f32 v8, v79, v12, -v38
	v_fmac_f32_e32 v13, v27, v12
	v_fma_f32 v12, v77, v16, -v40
	v_fmac_f32_e32 v17, v29, v16
	v_fmac_f32_e32 v19, v30, v18
	v_fma_f32 v16, v75, v20, -v42
	v_fmac_f32_e32 v21, v31, v20
	v_fma_f32 v18, v72, v22, -v43
	;; [unrolled: 2-line block ×3, first 2 shown]
	v_fmac_f32_e32 v25, v33, v24
	v_add_f32_e32 v24, v10, v14
	v_sub_f32_e32 v26, v11, v23
	v_sub_f32_e32 v28, v7, v10
	;; [unrolled: 1-line block ×3, first 2 shown]
	v_add_f32_e32 v30, v7, v18
	v_sub_f32_e32 v31, v10, v7
	v_sub_f32_e32 v32, v14, v18
	v_fma_f32 v24, -0.5, v24, v70
	v_add_f32_e32 v22, v70, v7
	v_sub_f32_e32 v27, v15, v19
	v_add_f32_e32 v28, v28, v29
	v_fmac_f32_e32 v70, -0.5, v30
	v_add_f32_e32 v29, v31, v32
	v_fmamk_f32 v31, v26, 0x3f737871, v24
	v_fmac_f32_e32 v24, 0xbf737871, v26
	v_add_f32_e32 v22, v22, v10
	v_fmamk_f32 v32, v27, 0xbf737871, v70
	v_fmac_f32_e32 v70, 0x3f737871, v27
	v_fmac_f32_e32 v31, 0x3f167918, v27
	;; [unrolled: 1-line block ×3, first 2 shown]
	v_add_f32_e32 v27, v15, v19
	v_add_f32_e32 v22, v22, v14
	v_fma_f32 v27, -0.5, v27, v6
	v_sub_f32_e32 v7, v7, v18
	v_add_f32_e32 v22, v22, v18
	v_fmac_f32_e32 v31, 0x3e9e377a, v28
	v_fmac_f32_e32 v24, 0x3e9e377a, v28
	v_fmamk_f32 v18, v7, 0xbf737871, v27
	v_sub_f32_e32 v10, v10, v14
	v_sub_f32_e32 v14, v11, v15
	;; [unrolled: 1-line block ×3, first 2 shown]
	v_fmac_f32_e32 v27, 0x3f737871, v7
	v_fmac_f32_e32 v18, 0xbf167918, v10
	v_add_f32_e32 v14, v14, v28
	v_fmac_f32_e32 v27, 0x3f167918, v10
	v_fmac_f32_e32 v18, 0x3e9e377a, v14
	;; [unrolled: 1-line block ×3, first 2 shown]
	v_add_f32_e32 v14, v11, v23
	v_add_f32_e32 v33, v6, v11
	v_fmac_f32_e32 v6, -0.5, v14
	v_add_f32_e32 v30, v33, v15
	v_fmamk_f32 v14, v10, 0x3f737871, v6
	v_sub_f32_e32 v11, v15, v11
	v_sub_f32_e32 v15, v19, v23
	v_fmac_f32_e32 v6, 0xbf737871, v10
	v_fmac_f32_e32 v14, 0xbf167918, v7
	v_add_f32_e32 v11, v11, v15
	v_fmac_f32_e32 v6, 0x3f167918, v7
	v_add_f32_e32 v10, v12, v16
	v_add_f32_e32 v30, v30, v19
	v_fmac_f32_e32 v14, 0x3e9e377a, v11
	v_fmac_f32_e32 v6, 0x3e9e377a, v11
	v_fma_f32 v10, -0.5, v10, v36
	v_sub_f32_e32 v11, v13, v25
	v_fmac_f32_e32 v32, 0x3f167918, v26
	v_fmac_f32_e32 v70, 0xbf167918, v26
	v_add_f32_e32 v26, v30, v23
	v_fmamk_f32 v15, v11, 0x3f737871, v10
	v_sub_f32_e32 v19, v17, v21
	v_sub_f32_e32 v23, v8, v12
	;; [unrolled: 1-line block ×3, first 2 shown]
	v_fmac_f32_e32 v10, 0xbf737871, v11
	v_fmac_f32_e32 v15, 0x3f167918, v19
	v_add_f32_e32 v23, v23, v28
	v_fmac_f32_e32 v10, 0xbf167918, v19
	v_fmac_f32_e32 v15, 0x3e9e377a, v23
	;; [unrolled: 1-line block ×3, first 2 shown]
	v_add_f32_e32 v23, v8, v20
	v_add_f32_e32 v7, v36, v8
	v_fmac_f32_e32 v36, -0.5, v23
	v_fmac_f32_e32 v32, 0x3e9e377a, v29
	v_fmac_f32_e32 v70, 0x3e9e377a, v29
	v_add_f32_e32 v7, v7, v12
	v_fmamk_f32 v23, v19, 0xbf737871, v36
	v_sub_f32_e32 v28, v12, v8
	v_sub_f32_e32 v29, v16, v20
	v_fmac_f32_e32 v36, 0x3f737871, v19
	v_add_f32_e32 v19, v17, v21
	v_add_f32_e32 v7, v7, v16
	v_fmac_f32_e32 v23, 0x3f167918, v11
	v_add_f32_e32 v28, v28, v29
	v_fmac_f32_e32 v36, 0xbf167918, v11
	v_fma_f32 v19, -0.5, v19, v9
	v_sub_f32_e32 v8, v8, v20
	v_add_f32_e32 v7, v7, v20
	v_fmac_f32_e32 v23, 0x3e9e377a, v28
	v_fmac_f32_e32 v36, 0x3e9e377a, v28
	v_fmamk_f32 v20, v8, 0xbf737871, v19
	v_sub_f32_e32 v12, v12, v16
	v_sub_f32_e32 v16, v13, v17
	;; [unrolled: 1-line block ×3, first 2 shown]
	v_fmac_f32_e32 v19, 0x3f737871, v8
	v_fmac_f32_e32 v20, 0xbf167918, v12
	v_add_f32_e32 v16, v16, v28
	v_fmac_f32_e32 v19, 0x3f167918, v12
	v_fmac_f32_e32 v20, 0x3e9e377a, v16
	;; [unrolled: 1-line block ×3, first 2 shown]
	v_add_f32_e32 v16, v13, v25
	v_add_f32_e32 v11, v9, v13
	v_fmac_f32_e32 v9, -0.5, v16
	v_add_f32_e32 v11, v11, v17
	v_fmamk_f32 v16, v12, 0x3f737871, v9
	v_sub_f32_e32 v13, v17, v13
	v_sub_f32_e32 v17, v21, v25
	v_fmac_f32_e32 v9, 0xbf737871, v12
	v_add_f32_e32 v11, v11, v21
	v_add_f32_e32 v13, v13, v17
	v_fmac_f32_e32 v9, 0x3f167918, v8
	v_add_f32_e32 v11, v11, v25
	v_fmac_f32_e32 v9, 0x3e9e377a, v13
	v_mul_f32_e32 v25, 0x3e9e377a, v36
	v_fmac_f32_e32 v16, 0xbf167918, v8
	v_fma_f32 v25, v9, s10, -v25
	v_mul_f32_e32 v9, 0x3e9e377a, v9
	v_fmac_f32_e32 v16, 0x3e9e377a, v13
	v_fma_f32 v9, v36, s14, -v9
	v_add_f32_e32 v8, v22, v7
	v_mul_f32_e32 v12, 0x3f167918, v20
	v_mul_f32_e32 v17, 0x3f737871, v16
	v_add_f32_e32 v28, v70, v25
	v_mul_f32_e32 v29, 0x3f4f1bbd, v10
	v_add_f32_e32 v33, v26, v11
	v_add_f32_e32 v36, v6, v9
	v_sub_f32_e32 v7, v22, v7
	v_sub_f32_e32 v22, v70, v25
	;; [unrolled: 1-line block ×4, first 2 shown]
	v_mov_b32_e32 v9, 2
	v_fmac_f32_e32 v12, 0x3f4f1bbd, v15
	v_fmac_f32_e32 v17, 0x3e9e377a, v23
	v_fma_f32 v29, v19, s2, -v29
	v_mul_f32_e32 v15, 0xbf167918, v15
	v_mul_f32_e32 v23, 0xbf737871, v23
	v_mul_f32_e32 v19, 0x3f4f1bbd, v19
	v_mul_u32_u24_e32 v6, 0x2a8, v34
	v_lshlrev_b32_sdwa v9, v9, v35 dst_sel:DWORD dst_unused:UNUSED_PAD src0_sel:DWORD src1_sel:BYTE_0
	v_add_f32_e32 v13, v31, v12
	v_add_f32_e32 v30, v24, v29
	v_fmac_f32_e32 v15, 0x3f4f1bbd, v20
	v_fmac_f32_e32 v23, 0x3e9e377a, v16
	v_fma_f32 v10, v10, s12, -v19
	v_sub_f32_e32 v12, v31, v12
	v_sub_f32_e32 v24, v24, v29
	v_add3_u32 v29, 0, v6, v9
	v_add_f32_e32 v21, v32, v17
	v_add_f32_e32 v20, v18, v15
	;; [unrolled: 1-line block ×4, first 2 shown]
	v_sub_f32_e32 v17, v32, v17
	v_sub_f32_e32 v18, v18, v15
	;; [unrolled: 1-line block ×4, first 2 shown]
	ds_write2_b32 v29, v8, v13 offset1:17
	ds_write2_b32 v29, v21, v28 offset0:34 offset1:51
	ds_write2_b32 v29, v30, v7 offset0:68 offset1:85
	;; [unrolled: 1-line block ×4, first 2 shown]
	s_waitcnt lgkmcnt(0)
	s_barrier
	ds_read2_b32 v[6:7], v1 offset1:170
	ds_read2_b32 v[8:9], v82 offset0:84 offset1:254
	ds_read2_b32 v[12:13], v81 offset0:40 offset1:210
	;; [unrolled: 1-line block ×4, first 2 shown]
	s_waitcnt lgkmcnt(0)
	s_barrier
	ds_write2_b32 v29, v33, v20 offset1:17
	ds_write2_b32 v29, v16, v36 offset0:34 offset1:51
	ds_write2_b32 v29, v19, v25 offset0:68 offset1:85
	;; [unrolled: 1-line block ×4, first 2 shown]
	s_waitcnt lgkmcnt(0)
	s_barrier
	s_and_saveexec_b64 s[18:19], s[0:1]
	s_cbranch_execz .LBB0_19
; %bb.18:
	v_mul_u32_u24_e32 v0, 9, v0
	v_lshlrev_b32_e32 v0, 3, v0
	global_load_dwordx4 v[16:19], v0, s[4:5] offset:1240
	global_load_dwordx4 v[20:23], v0, s[4:5] offset:1224
	;; [unrolled: 1-line block ×4, first 2 shown]
	global_load_dwordx2 v[32:33], v0, s[4:5] offset:1288
	v_add_u32_e32 v35, 0x400, v1
	v_add_u32_e32 v37, 0xa00, v1
	v_add_u32_e32 v39, 0x1400, v1
	v_add_u32_e32 v41, 0xf00, v1
	ds_read2_b32 v[0:1], v1 offset1:170
	ds_read2_b32 v[54:55], v35 offset0:84 offset1:254
	ds_read2_b32 v[56:57], v37 offset0:40 offset1:210
	;; [unrolled: 1-line block ×4, first 2 shown]
	v_mov_b32_e32 v5, 0
	v_lshl_add_u64 v[2:3], v[2:3], 3, s[8:9]
	v_mov_b32_e32 v50, v7
	v_mov_b32_e32 v52, v7
	v_lshl_add_u64 v[2:3], v[4:5], 3, v[2:3]
	s_waitcnt lgkmcnt(4)
	v_mov_b32_e32 v4, v1
	v_mov_b32_e32 v7, v0
	s_waitcnt lgkmcnt(3)
	v_mov_b32_e32 v0, v55
	s_waitcnt lgkmcnt(2)
	v_mov_b32_e32 v62, v57
	v_mov_b32_e32 v34, v9
	v_mov_b32_e32 v36, v9
	v_mov_b32_e32 v38, v13
	v_mov_b32_e32 v40, v13
	s_waitcnt lgkmcnt(1)
	v_mov_b32_e32 v64, v59
	s_waitcnt lgkmcnt(0)
	v_mov_b32_e32 v66, v61
	v_mov_b32_e32 v42, v15
	;; [unrolled: 1-line block ×5, first 2 shown]
	s_mov_b32 s15, s10
	s_movk_i32 s0, 0x1000
	s_mov_b32 s13, s2
	s_waitcnt vmcnt(4)
	v_mov_b32_e32 v68, v19
	v_mov_b32_e32 v69, v18
	s_waitcnt vmcnt(3)
	v_mov_b32_e32 v70, v23
	v_mov_b32_e32 v71, v22
	;; [unrolled: 3-line block ×4, first 2 shown]
	v_pk_mul_f32 v[0:1], v[16:17], v[0:1] op_sel_hi:[1,0]
	v_pk_mul_f32 v[62:63], v[24:25], v[62:63] op_sel_hi:[1,0]
	;; [unrolled: 1-line block ×7, first 2 shown]
	s_waitcnt vmcnt(0)
	v_pk_mul_f32 v[64:65], v[32:33], v[64:65] op_sel_hi:[1,0]
	v_pk_mul_f32 v[66:67], v[28:29], v[66:67] op_sel_hi:[1,0]
	v_pk_fma_f32 v[34:35], v[34:35], v[16:17], v[0:1] op_sel:[0,0,1] op_sel_hi:[1,1,0] neg_lo:[0,0,1] neg_hi:[0,0,1]
	v_pk_fma_f32 v[0:1], v[36:37], v[16:17], v[0:1] op_sel:[0,0,1] op_sel_hi:[0,1,0]
	v_pk_fma_f32 v[16:17], v[38:39], v[24:25], v[62:63] op_sel:[0,0,1] op_sel_hi:[1,1,0] neg_lo:[0,0,1] neg_hi:[0,0,1]
	v_pk_fma_f32 v[24:25], v[40:41], v[24:25], v[62:63] op_sel:[0,0,1] op_sel_hi:[0,1,0]
	;; [unrolled: 2-line block ×3, first 2 shown]
	v_pk_fma_f32 v[20:21], v[12:13], v[18:19], v[56:57] neg_lo:[0,0,1] neg_hi:[0,0,1]
	v_pk_fma_f32 v[12:13], v[12:13], v[18:19], v[56:57] op_sel_hi:[0,1,1]
	v_pk_fma_f32 v[18:19], v[8:9], v[22:23], v[54:55] neg_lo:[0,0,1] neg_hi:[0,0,1]
	v_pk_fma_f32 v[8:9], v[8:9], v[22:23], v[54:55] op_sel_hi:[0,1,1]
	v_pk_fma_f32 v[22:23], v[10:11], v[26:27], v[60:61] neg_lo:[0,0,1] neg_hi:[0,0,1]
	v_pk_fma_f32 v[10:11], v[10:11], v[26:27], v[60:61] op_sel_hi:[0,1,1]
	v_pk_fma_f32 v[26:27], v[14:15], v[30:31], v[58:59] neg_lo:[0,0,1] neg_hi:[0,0,1]
	v_pk_fma_f32 v[14:15], v[14:15], v[30:31], v[58:59] op_sel_hi:[0,1,1]
	v_pk_fma_f32 v[36:37], v[42:43], v[32:33], v[64:65] op_sel:[0,0,1] op_sel_hi:[1,1,0] neg_lo:[0,0,1] neg_hi:[0,0,1]
	v_pk_fma_f32 v[32:33], v[44:45], v[32:33], v[64:65] op_sel:[0,0,1] op_sel_hi:[0,1,0]
	v_pk_fma_f32 v[38:39], v[46:47], v[28:29], v[66:67] op_sel:[0,0,1] op_sel_hi:[1,1,0] neg_lo:[0,0,1] neg_hi:[0,0,1]
	v_pk_fma_f32 v[28:29], v[48:49], v[28:29], v[66:67] op_sel:[0,0,1] op_sel_hi:[0,1,0]
	v_mov_b32_e32 v35, v1
	v_mov_b32_e32 v41, v5
	;; [unrolled: 1-line block ×9, first 2 shown]
	v_pk_add_f32 v[0:1], v[34:35], v[40:41]
	v_pk_add_f32 v[4:5], v[6:7], v[18:19]
	v_pk_add_f32 v[28:29], v[18:19], v[20:21] neg_lo:[0,1] neg_hi:[0,1]
	v_pk_add_f32 v[30:31], v[26:27], v[22:23] neg_lo:[0,1] neg_hi:[0,1]
	v_pk_add_f32 v[0:1], v[16:17], v[0:1]
	v_pk_add_f32 v[8:9], v[20:21], v[22:23]
	v_pk_add_f32 v[10:11], v[18:19], v[26:27] neg_lo:[0,1] neg_hi:[0,1]
	v_pk_add_f32 v[4:5], v[4:5], v[20:21]
	v_pk_add_f32 v[14:15], v[20:21], v[22:23] neg_lo:[0,1] neg_hi:[0,1]
	;; [unrolled: 2-line block ×4, first 2 shown]
	v_pk_add_f32 v[48:49], v[34:35], v[16:17] neg_lo:[0,1] neg_hi:[0,1]
	v_pk_add_f32 v[16:17], v[16:17], v[34:35] neg_lo:[0,1] neg_hi:[0,1]
	v_pk_add_f32 v[34:35], v[34:35], v[36:37]
	v_pk_add_f32 v[20:21], v[20:21], v[18:19] neg_lo:[0,1] neg_hi:[0,1]
	v_pk_add_f32 v[18:19], v[18:19], v[26:27]
	v_pk_add_f32 v[0:1], v[38:39], v[0:1]
	v_pk_fma_f32 v[8:9], v[8:9], 0.5, v[6:7] op_sel_hi:[1,0,1] neg_lo:[1,0,0] neg_hi:[1,0,0]
	v_pk_add_f32 v[4:5], v[4:5], v[22:23]
	v_pk_mul_f32 v[32:33], v[30:31], s[10:11] op_sel_hi:[1,0]
	v_pk_fma_f32 v[42:43], v[42:43], 0.5, v[40:41] op_sel_hi:[1,0,1] neg_lo:[1,0,0] neg_hi:[1,0,0]
	v_pk_add_f32 v[50:51], v[36:37], v[38:39] neg_lo:[0,1] neg_hi:[0,1]
	v_pk_fma_f32 v[34:35], v[34:35], 0.5, v[40:41] op_sel_hi:[1,0,1] neg_lo:[1,0,0] neg_hi:[1,0,0]
	v_pk_add_f32 v[22:23], v[22:23], v[26:27] neg_lo:[0,1] neg_hi:[0,1]
	v_pk_fma_f32 v[6:7], v[18:19], 0.5, v[6:7] op_sel_hi:[1,0,1] neg_lo:[1,0,0] neg_hi:[1,0,0]
	v_pk_mul_f32 v[18:19], v[44:45], s[10:11] op_sel_hi:[1,0]
	v_pk_add_f32 v[0:1], v[36:37], v[0:1]
	v_pk_add_f32 v[4:5], v[26:27], v[4:5]
	v_pk_mul_f32 v[46:47], v[44:45], s[2:3] op_sel_hi:[1,0]
	v_pk_add_f32 v[48:49], v[48:49], v[50:51]
	v_pk_add_f32 v[50:51], v[42:43], v[32:33] op_sel:[0,1] op_sel_hi:[1,0]
	v_pk_add_f32 v[32:33], v[42:43], v[32:33] op_sel:[0,1] op_sel_hi:[1,0] neg_lo:[0,1] neg_hi:[0,1]
	v_pk_add_f32 v[20:21], v[20:21], v[22:23]
	v_pk_mul_f32 v[22:23], v[30:31], s[2:3] op_sel_hi:[1,0]
	v_pk_add_f32 v[26:27], v[34:35], v[18:19] op_sel:[0,1] op_sel_hi:[1,0] neg_lo:[0,1] neg_hi:[0,1]
	v_pk_add_f32 v[18:19], v[34:35], v[18:19] op_sel:[0,1] op_sel_hi:[1,0]
	v_pk_add_f32 v[12:13], v[4:5], v[0:1]
	v_pk_add_f32 v[32:33], v[32:33], v[46:47] op_sel:[0,1] op_sel_hi:[1,0] neg_lo:[0,1] neg_hi:[0,1]
	v_pk_add_f32 v[42:43], v[50:51], v[46:47] op_sel:[0,1] op_sel_hi:[1,0]
	v_pk_add_f32 v[38:39], v[38:39], v[36:37] neg_lo:[0,1] neg_hi:[0,1]
	v_pk_add_f32 v[18:19], v[18:19], v[22:23] op_sel:[0,1] op_sel_hi:[1,0] neg_lo:[0,1] neg_hi:[0,1]
	v_pk_add_f32 v[22:23], v[26:27], v[22:23] op_sel:[0,1] op_sel_hi:[1,0]
	global_store_dwordx2 v[2:3], v[12:13], off
	v_pk_mul_f32 v[12:13], v[10:11], s[10:11] op_sel_hi:[1,0]
	v_pk_mul_f32 v[24:25], v[14:15], s[2:3] op_sel_hi:[1,0]
	v_mov_b32_e32 v46, v42
	v_mov_b32_e32 v47, v33
	v_pk_add_f32 v[16:17], v[16:17], v[38:39]
	v_pk_mul_f32 v[14:15], v[14:15], s[10:11] op_sel_hi:[1,0]
	v_mov_b32_e32 v26, v22
	v_mov_b32_e32 v27, v19
	v_pk_fma_f32 v[46:47], v[48:49], s[6:7], v[46:47] op_sel_hi:[1,0,1]
	v_pk_add_f32 v[50:51], v[8:9], v[12:13] op_sel:[0,1] op_sel_hi:[1,0]
	v_pk_add_f32 v[8:9], v[8:9], v[12:13] op_sel:[0,1] op_sel_hi:[1,0] neg_lo:[0,1] neg_hi:[0,1]
	v_pk_mul_f32 v[10:11], v[10:11], s[2:3] op_sel_hi:[1,0]
	v_pk_fma_f32 v[26:27], v[16:17], s[6:7], v[26:27] op_sel_hi:[1,0,1]
	v_pk_add_f32 v[30:31], v[6:7], v[14:15] op_sel:[0,1] op_sel_hi:[1,0] neg_lo:[0,1] neg_hi:[0,1]
	v_pk_add_f32 v[6:7], v[6:7], v[14:15] op_sel:[0,1] op_sel_hi:[1,0]
	v_mov_b32_e32 v19, v23
	v_pk_add_f32 v[8:9], v[8:9], v[24:25] op_sel:[0,1] op_sel_hi:[1,0] neg_lo:[0,1] neg_hi:[0,1]
	v_pk_add_f32 v[12:13], v[50:51], v[24:25] op_sel:[0,1] op_sel_hi:[1,0]
	v_pk_mul_f32 v[50:51], v[46:47], s[2:3] op_sel_hi:[1,0]
	v_pk_add_f32 v[6:7], v[6:7], v[10:11] op_sel:[0,1] op_sel_hi:[1,0] neg_lo:[0,1] neg_hi:[0,1]
	v_pk_add_f32 v[10:11], v[30:31], v[10:11] op_sel:[0,1] op_sel_hi:[1,0]
	v_pk_mul_f32 v[30:31], v[26:27], s[10:11] op_sel_hi:[1,0]
	v_pk_fma_f32 v[16:17], v[16:17], s[6:7], v[18:19] op_sel_hi:[1,0,1]
	v_mov_b32_e32 v24, v12
	v_mov_b32_e32 v25, v9
	v_pk_fma_f32 v[52:53], v[46:47], s[16:17], v[50:51] op_sel:[0,0,1] op_sel_hi:[1,0,0]
	v_pk_fma_f32 v[46:47], v[46:47], s[16:17], v[50:51] op_sel:[0,0,1] op_sel_hi:[1,0,0] neg_lo:[0,0,1] neg_hi:[0,0,1]
	v_mov_b32_e32 v14, v10
	v_mov_b32_e32 v15, v7
	v_pk_fma_f32 v[34:35], v[26:27], s[6:7], v[30:31] op_sel:[0,0,1] op_sel_hi:[1,0,0]
	v_pk_fma_f32 v[26:27], v[26:27], s[6:7], v[30:31] op_sel:[0,0,1] op_sel_hi:[1,0,0] neg_lo:[0,0,1] neg_hi:[0,0,1]
	v_mov_b32_e32 v7, v11
	v_pk_mul_f32 v[10:11], v[16:17], s[6:7] op_sel_hi:[1,0]
	v_pk_fma_f32 v[24:25], v[28:29], s[6:7], v[24:25] op_sel_hi:[1,0,1]
	v_mov_b32_e32 v53, v47
	v_pk_fma_f32 v[14:15], v[20:21], s[6:7], v[14:15] op_sel_hi:[1,0,1]
	v_mov_b32_e32 v35, v27
	v_pk_fma_f32 v[6:7], v[20:21], s[6:7], v[6:7] op_sel_hi:[1,0,1]
	v_pk_fma_f32 v[10:11], v[16:17], s[14:15], v[10:11] op_sel:[0,0,1] op_sel_hi:[1,1,0] neg_lo:[0,0,1] neg_hi:[0,0,1]
	v_add_co_u32_e32 v18, vcc, s0, v2
	v_pk_add_f32 v[46:47], v[24:25], v[52:53]
	v_pk_add_f32 v[26:27], v[14:15], v[34:35]
	v_pk_add_f32 v[16:17], v[6:7], v[10:11] op_sel:[0,1] op_sel_hi:[1,0]
	v_mov_b32_e32 v33, v43
	v_addc_co_u32_e32 v19, vcc, 0, v3, vcc
	v_pk_add_f32 v[0:1], v[4:5], v[0:1] neg_lo:[0,1] neg_hi:[0,1]
	global_store_dwordx2 v[2:3], v[46:47], off offset:1360
	global_store_dwordx2 v[2:3], v[26:27], off offset:2720
	;; [unrolled: 1-line block ×3, first 2 shown]
	v_pk_fma_f32 v[16:17], v[48:49], s[6:7], v[32:33] op_sel_hi:[1,0,1]
	global_store_dwordx2 v[18:19], v[0:1], off offset:2704
	v_pk_add_f32 v[0:1], v[24:25], v[52:53] neg_lo:[0,1] neg_hi:[0,1]
	v_add_co_u32_e32 v2, vcc, 0x2000, v2
	v_mov_b32_e32 v9, v13
	v_pk_mul_f32 v[12:13], v[16:17], s[16:17] op_sel_hi:[1,0]
	global_store_dwordx2 v[18:19], v[0:1], off offset:4064
	v_pk_add_f32 v[0:1], v[14:15], v[34:35] neg_lo:[0,1] neg_hi:[0,1]
	v_addc_co_u32_e32 v3, vcc, 0, v3, vcc
	v_pk_fma_f32 v[8:9], v[28:29], s[6:7], v[8:9] op_sel_hi:[1,0,1]
	v_pk_fma_f32 v[12:13], v[16:17], s[12:13], v[12:13] op_sel:[0,0,1] op_sel_hi:[1,1,0] neg_lo:[0,0,1] neg_hi:[0,0,1]
	global_store_dwordx2 v[2:3], v[0:1], off offset:1328
	v_pk_add_f32 v[0:1], v[6:7], v[10:11] op_sel:[0,1] op_sel_hi:[1,0] neg_lo:[0,1] neg_hi:[0,1]
	v_pk_add_f32 v[16:17], v[8:9], v[12:13] op_sel:[0,1] op_sel_hi:[1,0]
	global_store_dwordx2 v[2:3], v[0:1], off offset:2688
	v_pk_add_f32 v[0:1], v[8:9], v[12:13] op_sel:[0,1] op_sel_hi:[1,0] neg_lo:[0,1] neg_hi:[0,1]
	global_store_dwordx2 v[18:19], v[16:17], off offset:1344
	global_store_dwordx2 v[2:3], v[0:1], off offset:4048
.LBB0_19:
	s_endpgm
	.section	.rodata,"a",@progbits
	.p2align	6, 0x0
	.amdhsa_kernel fft_rtc_fwd_len1700_factors_17_10_10_wgs_170_tpt_170_halfLds_sp_ip_CI_unitstride_sbrr_dirReg
		.amdhsa_group_segment_fixed_size 0
		.amdhsa_private_segment_fixed_size 0
		.amdhsa_kernarg_size 88
		.amdhsa_user_sgpr_count 2
		.amdhsa_user_sgpr_dispatch_ptr 0
		.amdhsa_user_sgpr_queue_ptr 0
		.amdhsa_user_sgpr_kernarg_segment_ptr 1
		.amdhsa_user_sgpr_dispatch_id 0
		.amdhsa_user_sgpr_kernarg_preload_length 0
		.amdhsa_user_sgpr_kernarg_preload_offset 0
		.amdhsa_user_sgpr_private_segment_size 0
		.amdhsa_uses_dynamic_stack 0
		.amdhsa_enable_private_segment 0
		.amdhsa_system_sgpr_workgroup_id_x 1
		.amdhsa_system_sgpr_workgroup_id_y 0
		.amdhsa_system_sgpr_workgroup_id_z 0
		.amdhsa_system_sgpr_workgroup_info 0
		.amdhsa_system_vgpr_workitem_id 0
		.amdhsa_next_free_vgpr 154
		.amdhsa_next_free_sgpr 76
		.amdhsa_accum_offset 156
		.amdhsa_reserve_vcc 1
		.amdhsa_float_round_mode_32 0
		.amdhsa_float_round_mode_16_64 0
		.amdhsa_float_denorm_mode_32 3
		.amdhsa_float_denorm_mode_16_64 3
		.amdhsa_dx10_clamp 1
		.amdhsa_ieee_mode 1
		.amdhsa_fp16_overflow 0
		.amdhsa_tg_split 0
		.amdhsa_exception_fp_ieee_invalid_op 0
		.amdhsa_exception_fp_denorm_src 0
		.amdhsa_exception_fp_ieee_div_zero 0
		.amdhsa_exception_fp_ieee_overflow 0
		.amdhsa_exception_fp_ieee_underflow 0
		.amdhsa_exception_fp_ieee_inexact 0
		.amdhsa_exception_int_div_zero 0
	.end_amdhsa_kernel
	.text
.Lfunc_end0:
	.size	fft_rtc_fwd_len1700_factors_17_10_10_wgs_170_tpt_170_halfLds_sp_ip_CI_unitstride_sbrr_dirReg, .Lfunc_end0-fft_rtc_fwd_len1700_factors_17_10_10_wgs_170_tpt_170_halfLds_sp_ip_CI_unitstride_sbrr_dirReg
                                        ; -- End function
	.section	.AMDGPU.csdata,"",@progbits
; Kernel info:
; codeLenInByte = 9288
; NumSgprs: 82
; NumVgprs: 154
; NumAgprs: 0
; TotalNumVgprs: 154
; ScratchSize: 0
; MemoryBound: 0
; FloatMode: 240
; IeeeMode: 1
; LDSByteSize: 0 bytes/workgroup (compile time only)
; SGPRBlocks: 10
; VGPRBlocks: 19
; NumSGPRsForWavesPerEU: 82
; NumVGPRsForWavesPerEU: 154
; AccumOffset: 156
; Occupancy: 3
; WaveLimiterHint : 1
; COMPUTE_PGM_RSRC2:SCRATCH_EN: 0
; COMPUTE_PGM_RSRC2:USER_SGPR: 2
; COMPUTE_PGM_RSRC2:TRAP_HANDLER: 0
; COMPUTE_PGM_RSRC2:TGID_X_EN: 1
; COMPUTE_PGM_RSRC2:TGID_Y_EN: 0
; COMPUTE_PGM_RSRC2:TGID_Z_EN: 0
; COMPUTE_PGM_RSRC2:TIDIG_COMP_CNT: 0
; COMPUTE_PGM_RSRC3_GFX90A:ACCUM_OFFSET: 38
; COMPUTE_PGM_RSRC3_GFX90A:TG_SPLIT: 0
	.text
	.p2alignl 6, 3212836864
	.fill 256, 4, 3212836864
	.type	__hip_cuid_ef86cea84c34aa02,@object ; @__hip_cuid_ef86cea84c34aa02
	.section	.bss,"aw",@nobits
	.globl	__hip_cuid_ef86cea84c34aa02
__hip_cuid_ef86cea84c34aa02:
	.byte	0                               ; 0x0
	.size	__hip_cuid_ef86cea84c34aa02, 1

	.ident	"AMD clang version 19.0.0git (https://github.com/RadeonOpenCompute/llvm-project roc-6.4.0 25133 c7fe45cf4b819c5991fe208aaa96edf142730f1d)"
	.section	".note.GNU-stack","",@progbits
	.addrsig
	.addrsig_sym __hip_cuid_ef86cea84c34aa02
	.amdgpu_metadata
---
amdhsa.kernels:
  - .agpr_count:     0
    .args:
      - .actual_access:  read_only
        .address_space:  global
        .offset:         0
        .size:           8
        .value_kind:     global_buffer
      - .offset:         8
        .size:           8
        .value_kind:     by_value
      - .actual_access:  read_only
        .address_space:  global
        .offset:         16
        .size:           8
        .value_kind:     global_buffer
      - .actual_access:  read_only
        .address_space:  global
        .offset:         24
        .size:           8
        .value_kind:     global_buffer
      - .offset:         32
        .size:           8
        .value_kind:     by_value
      - .actual_access:  read_only
        .address_space:  global
        .offset:         40
        .size:           8
        .value_kind:     global_buffer
      - .actual_access:  read_only
        .address_space:  global
        .offset:         48
        .size:           8
        .value_kind:     global_buffer
      - .offset:         56
        .size:           4
        .value_kind:     by_value
      - .actual_access:  read_only
        .address_space:  global
        .offset:         64
        .size:           8
        .value_kind:     global_buffer
      - .actual_access:  read_only
        .address_space:  global
        .offset:         72
        .size:           8
        .value_kind:     global_buffer
      - .address_space:  global
        .offset:         80
        .size:           8
        .value_kind:     global_buffer
    .group_segment_fixed_size: 0
    .kernarg_segment_align: 8
    .kernarg_segment_size: 88
    .language:       OpenCL C
    .language_version:
      - 2
      - 0
    .max_flat_workgroup_size: 170
    .name:           fft_rtc_fwd_len1700_factors_17_10_10_wgs_170_tpt_170_halfLds_sp_ip_CI_unitstride_sbrr_dirReg
    .private_segment_fixed_size: 0
    .sgpr_count:     82
    .sgpr_spill_count: 0
    .symbol:         fft_rtc_fwd_len1700_factors_17_10_10_wgs_170_tpt_170_halfLds_sp_ip_CI_unitstride_sbrr_dirReg.kd
    .uniform_work_group_size: 1
    .uses_dynamic_stack: false
    .vgpr_count:     154
    .vgpr_spill_count: 0
    .wavefront_size: 64
amdhsa.target:   amdgcn-amd-amdhsa--gfx950
amdhsa.version:
  - 1
  - 2
...

	.end_amdgpu_metadata
